;; amdgpu-corpus repo=ROCm/rocFFT kind=compiled arch=gfx906 opt=O3
	.text
	.amdgcn_target "amdgcn-amd-amdhsa--gfx906"
	.amdhsa_code_object_version 6
	.protected	fft_rtc_fwd_len1734_factors_17_17_6_wgs_102_tpt_102_halfLds_dp_ip_CI_unitstride_sbrr_dirReg ; -- Begin function fft_rtc_fwd_len1734_factors_17_17_6_wgs_102_tpt_102_halfLds_dp_ip_CI_unitstride_sbrr_dirReg
	.globl	fft_rtc_fwd_len1734_factors_17_17_6_wgs_102_tpt_102_halfLds_dp_ip_CI_unitstride_sbrr_dirReg
	.p2align	8
	.type	fft_rtc_fwd_len1734_factors_17_17_6_wgs_102_tpt_102_halfLds_dp_ip_CI_unitstride_sbrr_dirReg,@function
fft_rtc_fwd_len1734_factors_17_17_6_wgs_102_tpt_102_halfLds_dp_ip_CI_unitstride_sbrr_dirReg: ; @fft_rtc_fwd_len1734_factors_17_17_6_wgs_102_tpt_102_halfLds_dp_ip_CI_unitstride_sbrr_dirReg
; %bb.0:
	s_load_dwordx2 s[12:13], s[4:5], 0x50
	s_load_dwordx4 s[8:11], s[4:5], 0x0
	s_load_dwordx2 s[2:3], s[4:5], 0x18
	v_mul_u32_u24_e32 v1, 0x283, v0
	v_add_u32_sdwa v5, s6, v1 dst_sel:DWORD dst_unused:UNUSED_PAD src0_sel:DWORD src1_sel:WORD_1
	v_mov_b32_e32 v3, 0
	s_waitcnt lgkmcnt(0)
	v_cmp_lt_u64_e64 s[0:1], s[10:11], 2
	v_mov_b32_e32 v1, 0
	v_mov_b32_e32 v6, v3
	s_and_b64 vcc, exec, s[0:1]
	v_mov_b32_e32 v2, 0
	s_cbranch_vccnz .LBB0_8
; %bb.1:
	s_load_dwordx2 s[0:1], s[4:5], 0x10
	s_add_u32 s6, s2, 8
	s_addc_u32 s7, s3, 0
	v_mov_b32_e32 v1, 0
	v_mov_b32_e32 v2, 0
	s_waitcnt lgkmcnt(0)
	s_add_u32 s14, s0, 8
	s_addc_u32 s15, s1, 0
	s_mov_b64 s[16:17], 1
.LBB0_2:                                ; =>This Inner Loop Header: Depth=1
	s_load_dwordx2 s[18:19], s[14:15], 0x0
                                        ; implicit-def: $vgpr7_vgpr8
	s_waitcnt lgkmcnt(0)
	v_or_b32_e32 v4, s19, v6
	v_cmp_ne_u64_e32 vcc, 0, v[3:4]
	s_and_saveexec_b64 s[0:1], vcc
	s_xor_b64 s[20:21], exec, s[0:1]
	s_cbranch_execz .LBB0_4
; %bb.3:                                ;   in Loop: Header=BB0_2 Depth=1
	v_cvt_f32_u32_e32 v4, s18
	v_cvt_f32_u32_e32 v7, s19
	s_sub_u32 s0, 0, s18
	s_subb_u32 s1, 0, s19
	v_mac_f32_e32 v4, 0x4f800000, v7
	v_rcp_f32_e32 v4, v4
	v_mul_f32_e32 v4, 0x5f7ffffc, v4
	v_mul_f32_e32 v7, 0x2f800000, v4
	v_trunc_f32_e32 v7, v7
	v_mac_f32_e32 v4, 0xcf800000, v7
	v_cvt_u32_f32_e32 v7, v7
	v_cvt_u32_f32_e32 v4, v4
	v_mul_lo_u32 v8, s0, v7
	v_mul_hi_u32 v9, s0, v4
	v_mul_lo_u32 v11, s1, v4
	v_mul_lo_u32 v10, s0, v4
	v_add_u32_e32 v8, v9, v8
	v_add_u32_e32 v8, v8, v11
	v_mul_hi_u32 v9, v4, v10
	v_mul_lo_u32 v11, v4, v8
	v_mul_hi_u32 v13, v4, v8
	v_mul_hi_u32 v12, v7, v10
	v_mul_lo_u32 v10, v7, v10
	v_mul_hi_u32 v14, v7, v8
	v_add_co_u32_e32 v9, vcc, v9, v11
	v_addc_co_u32_e32 v11, vcc, 0, v13, vcc
	v_mul_lo_u32 v8, v7, v8
	v_add_co_u32_e32 v9, vcc, v9, v10
	v_addc_co_u32_e32 v9, vcc, v11, v12, vcc
	v_addc_co_u32_e32 v10, vcc, 0, v14, vcc
	v_add_co_u32_e32 v8, vcc, v9, v8
	v_addc_co_u32_e32 v9, vcc, 0, v10, vcc
	v_add_co_u32_e32 v4, vcc, v4, v8
	v_addc_co_u32_e32 v7, vcc, v7, v9, vcc
	v_mul_lo_u32 v8, s0, v7
	v_mul_hi_u32 v9, s0, v4
	v_mul_lo_u32 v10, s1, v4
	v_mul_lo_u32 v11, s0, v4
	v_add_u32_e32 v8, v9, v8
	v_add_u32_e32 v8, v8, v10
	v_mul_lo_u32 v12, v4, v8
	v_mul_hi_u32 v13, v4, v11
	v_mul_hi_u32 v14, v4, v8
	;; [unrolled: 1-line block ×3, first 2 shown]
	v_mul_lo_u32 v11, v7, v11
	v_mul_hi_u32 v9, v7, v8
	v_add_co_u32_e32 v12, vcc, v13, v12
	v_addc_co_u32_e32 v13, vcc, 0, v14, vcc
	v_mul_lo_u32 v8, v7, v8
	v_add_co_u32_e32 v11, vcc, v12, v11
	v_addc_co_u32_e32 v10, vcc, v13, v10, vcc
	v_addc_co_u32_e32 v9, vcc, 0, v9, vcc
	v_add_co_u32_e32 v8, vcc, v10, v8
	v_addc_co_u32_e32 v9, vcc, 0, v9, vcc
	v_add_co_u32_e32 v4, vcc, v4, v8
	v_addc_co_u32_e32 v9, vcc, v7, v9, vcc
	v_mad_u64_u32 v[7:8], s[0:1], v5, v9, 0
	v_mul_hi_u32 v10, v5, v4
	v_add_co_u32_e32 v11, vcc, v10, v7
	v_addc_co_u32_e32 v12, vcc, 0, v8, vcc
	v_mad_u64_u32 v[7:8], s[0:1], v6, v4, 0
	v_mad_u64_u32 v[9:10], s[0:1], v6, v9, 0
	v_add_co_u32_e32 v4, vcc, v11, v7
	v_addc_co_u32_e32 v4, vcc, v12, v8, vcc
	v_addc_co_u32_e32 v7, vcc, 0, v10, vcc
	v_add_co_u32_e32 v4, vcc, v4, v9
	v_addc_co_u32_e32 v9, vcc, 0, v7, vcc
	v_mul_lo_u32 v10, s19, v4
	v_mul_lo_u32 v11, s18, v9
	v_mad_u64_u32 v[7:8], s[0:1], s18, v4, 0
	v_add3_u32 v8, v8, v11, v10
	v_sub_u32_e32 v10, v6, v8
	v_mov_b32_e32 v11, s19
	v_sub_co_u32_e32 v7, vcc, v5, v7
	v_subb_co_u32_e64 v10, s[0:1], v10, v11, vcc
	v_subrev_co_u32_e64 v11, s[0:1], s18, v7
	v_subbrev_co_u32_e64 v10, s[0:1], 0, v10, s[0:1]
	v_cmp_le_u32_e64 s[0:1], s19, v10
	v_cndmask_b32_e64 v12, 0, -1, s[0:1]
	v_cmp_le_u32_e64 s[0:1], s18, v11
	v_cndmask_b32_e64 v11, 0, -1, s[0:1]
	v_cmp_eq_u32_e64 s[0:1], s19, v10
	v_cndmask_b32_e64 v10, v12, v11, s[0:1]
	v_add_co_u32_e64 v11, s[0:1], 2, v4
	v_addc_co_u32_e64 v12, s[0:1], 0, v9, s[0:1]
	v_add_co_u32_e64 v13, s[0:1], 1, v4
	v_addc_co_u32_e64 v14, s[0:1], 0, v9, s[0:1]
	v_subb_co_u32_e32 v8, vcc, v6, v8, vcc
	v_cmp_ne_u32_e64 s[0:1], 0, v10
	v_cmp_le_u32_e32 vcc, s19, v8
	v_cndmask_b32_e64 v10, v14, v12, s[0:1]
	v_cndmask_b32_e64 v12, 0, -1, vcc
	v_cmp_le_u32_e32 vcc, s18, v7
	v_cndmask_b32_e64 v7, 0, -1, vcc
	v_cmp_eq_u32_e32 vcc, s19, v8
	v_cndmask_b32_e32 v7, v12, v7, vcc
	v_cmp_ne_u32_e32 vcc, 0, v7
	v_cndmask_b32_e64 v7, v13, v11, s[0:1]
	v_cndmask_b32_e32 v8, v9, v10, vcc
	v_cndmask_b32_e32 v7, v4, v7, vcc
.LBB0_4:                                ;   in Loop: Header=BB0_2 Depth=1
	s_andn2_saveexec_b64 s[0:1], s[20:21]
	s_cbranch_execz .LBB0_6
; %bb.5:                                ;   in Loop: Header=BB0_2 Depth=1
	v_cvt_f32_u32_e32 v4, s18
	s_sub_i32 s20, 0, s18
	v_rcp_iflag_f32_e32 v4, v4
	v_mul_f32_e32 v4, 0x4f7ffffe, v4
	v_cvt_u32_f32_e32 v4, v4
	v_mul_lo_u32 v7, s20, v4
	v_mul_hi_u32 v7, v4, v7
	v_add_u32_e32 v4, v4, v7
	v_mul_hi_u32 v4, v5, v4
	v_mul_lo_u32 v7, v4, s18
	v_add_u32_e32 v8, 1, v4
	v_sub_u32_e32 v7, v5, v7
	v_subrev_u32_e32 v9, s18, v7
	v_cmp_le_u32_e32 vcc, s18, v7
	v_cndmask_b32_e32 v7, v7, v9, vcc
	v_cndmask_b32_e32 v4, v4, v8, vcc
	v_add_u32_e32 v8, 1, v4
	v_cmp_le_u32_e32 vcc, s18, v7
	v_cndmask_b32_e32 v7, v4, v8, vcc
	v_mov_b32_e32 v8, v3
.LBB0_6:                                ;   in Loop: Header=BB0_2 Depth=1
	s_or_b64 exec, exec, s[0:1]
	v_mul_lo_u32 v4, v8, s18
	v_mul_lo_u32 v11, v7, s19
	v_mad_u64_u32 v[9:10], s[0:1], v7, s18, 0
	s_load_dwordx2 s[0:1], s[6:7], 0x0
	s_add_u32 s16, s16, 1
	v_add3_u32 v4, v10, v11, v4
	v_sub_co_u32_e32 v5, vcc, v5, v9
	v_subb_co_u32_e32 v4, vcc, v6, v4, vcc
	s_waitcnt lgkmcnt(0)
	v_mul_lo_u32 v4, s0, v4
	v_mul_lo_u32 v6, s1, v5
	v_mad_u64_u32 v[1:2], s[0:1], s0, v5, v[1:2]
	s_addc_u32 s17, s17, 0
	s_add_u32 s6, s6, 8
	v_add3_u32 v2, v6, v2, v4
	v_mov_b32_e32 v4, s10
	v_mov_b32_e32 v5, s11
	s_addc_u32 s7, s7, 0
	v_cmp_ge_u64_e32 vcc, s[16:17], v[4:5]
	s_add_u32 s14, s14, 8
	s_addc_u32 s15, s15, 0
	s_cbranch_vccnz .LBB0_9
; %bb.7:                                ;   in Loop: Header=BB0_2 Depth=1
	v_mov_b32_e32 v5, v7
	v_mov_b32_e32 v6, v8
	s_branch .LBB0_2
.LBB0_8:
	v_mov_b32_e32 v8, v6
	v_mov_b32_e32 v7, v5
.LBB0_9:
	s_lshl_b64 s[0:1], s[10:11], 3
	s_add_u32 s0, s2, s0
	s_addc_u32 s1, s3, s1
	s_load_dwordx2 s[2:3], s[0:1], 0x0
	s_load_dwordx2 s[6:7], s[4:5], 0x20
                                        ; implicit-def: $vgpr14_vgpr15
                                        ; implicit-def: $vgpr18_vgpr19
                                        ; implicit-def: $vgpr22_vgpr23
                                        ; implicit-def: $vgpr30_vgpr31
                                        ; implicit-def: $vgpr34_vgpr35
                                        ; implicit-def: $vgpr38_vgpr39
                                        ; implicit-def: $vgpr42_vgpr43
                                        ; implicit-def: $vgpr46_vgpr47
                                        ; implicit-def: $vgpr50_vgpr51
                                        ; implicit-def: $vgpr54_vgpr55
                                        ; implicit-def: $vgpr58_vgpr59
                                        ; implicit-def: $vgpr62_vgpr63
                                        ; implicit-def: $vgpr66_vgpr67
                                        ; implicit-def: $vgpr26_vgpr27
                                        ; implicit-def: $vgpr10_vgpr11
	s_waitcnt lgkmcnt(0)
	v_mad_u64_u32 v[1:2], s[0:1], s2, v7, v[1:2]
	v_mul_lo_u32 v3, s2, v8
	v_mul_lo_u32 v4, s3, v7
	s_mov_b32 s0, 0x2828283
	v_mul_hi_u32 v5, v0, s0
	v_cmp_gt_u64_e64 s[0:1], s[6:7], v[7:8]
	v_add3_u32 v2, v4, v2, v3
	v_lshlrev_b64 v[70:71], 4, v[1:2]
	v_mul_u32_u24_e32 v3, 0x66, v5
	v_sub_u32_e32 v68, v0, v3
                                        ; implicit-def: $vgpr6_vgpr7
                                        ; implicit-def: $vgpr2_vgpr3
	s_and_saveexec_b64 s[2:3], s[0:1]
	s_cbranch_execz .LBB0_11
; %bb.10:
	v_mov_b32_e32 v69, 0
	v_mov_b32_e32 v0, s13
	v_add_co_u32_e32 v2, vcc, s12, v70
	v_addc_co_u32_e32 v3, vcc, v0, v71, vcc
	v_lshlrev_b64 v[0:1], 4, v[68:69]
	s_movk_i32 s4, 0x1000
	v_add_co_u32_e32 v12, vcc, v2, v0
	v_addc_co_u32_e32 v13, vcc, v3, v1, vcc
	v_add_co_u32_e32 v72, vcc, s4, v12
	v_addc_co_u32_e32 v73, vcc, 0, v13, vcc
	s_movk_i32 s4, 0x2000
	v_add_co_u32_e32 v74, vcc, s4, v12
	v_addc_co_u32_e32 v75, vcc, 0, v13, vcc
	s_movk_i32 s4, 0x3000
	;; [unrolled: 3-line block ×4, first 2 shown]
	v_add_co_u32_e32 v80, vcc, s4, v12
	v_addc_co_u32_e32 v81, vcc, 0, v13, vcc
	v_add_co_u32_e32 v82, vcc, 0x6000, v12
	global_load_dwordx4 v[0:3], v[12:13], off
	global_load_dwordx4 v[4:7], v[12:13], off offset:1632
	global_load_dwordx4 v[8:11], v[12:13], off offset:3264
	;; [unrolled: 1-line block ×3, first 2 shown]
	v_addc_co_u32_e32 v83, vcc, 0, v13, vcc
	global_load_dwordx4 v[64:67], v[72:73], off offset:2432
	global_load_dwordx4 v[60:63], v[72:73], off offset:4064
	;; [unrolled: 1-line block ×13, first 2 shown]
.LBB0_11:
	s_or_b64 exec, exec, s[2:3]
	s_waitcnt vmcnt(15)
	v_add_f64 v[72:73], v[4:5], v[0:1]
	v_add_f64 v[74:75], v[6:7], v[2:3]
	s_waitcnt vmcnt(5)
	v_add_f64 v[82:83], v[36:37], v[56:57]
	v_add_f64 v[80:81], v[56:57], -v[36:37]
	s_waitcnt vmcnt(0)
	v_add_f64 v[116:117], v[4:5], -v[12:13]
	v_add_f64 v[76:77], v[38:39], v[58:59]
	v_add_f64 v[78:79], v[58:59], -v[38:39]
	v_add_f64 v[92:93], v[30:31], v[66:67]
	v_add_f64 v[72:73], v[8:9], v[72:73]
	;; [unrolled: 1-line block ×3, first 2 shown]
	v_add_f64 v[94:95], v[66:67], -v[30:31]
	v_add_f64 v[90:91], v[32:33], v[60:61]
	v_add_f64 v[84:85], v[34:35], v[62:63]
	v_add_f64 v[88:89], v[60:61], -v[32:33]
	v_add_f64 v[86:87], v[62:63], -v[34:35]
	v_add_f64 v[98:99], v[28:29], v[64:65]
	v_add_f64 v[100:101], v[24:25], v[72:73]
	;; [unrolled: 1-line block ×4, first 2 shown]
	v_add_f64 v[96:97], v[64:65], -v[28:29]
	s_mov_b32 s24, 0x370991
	s_mov_b32 s20, 0x75d4884
	;; [unrolled: 1-line block ×4, first 2 shown]
	v_add_f64 v[108:109], v[64:65], v[100:101]
	v_add_f64 v[110:111], v[66:67], v[102:103]
	v_add_f64 v[66:67], v[52:53], -v[40:41]
	s_mov_b32 s6, 0x3259b75e
	s_mov_b32 s14, 0xeb564b22
	;; [unrolled: 1-line block ×5, first 2 shown]
	v_add_f64 v[108:109], v[60:61], v[108:109]
	v_add_f64 v[110:111], v[62:63], v[110:111]
	;; [unrolled: 1-line block ×3, first 2 shown]
	v_add_f64 v[62:63], v[48:49], -v[44:45]
	s_mov_b32 s44, 0x6c9a05f6
	s_mov_b32 s34, 0x910ea3b9
	;; [unrolled: 1-line block ×4, first 2 shown]
	v_add_f64 v[56:57], v[56:57], v[108:109]
	v_add_f64 v[108:109], v[12:13], v[4:5]
	;; [unrolled: 1-line block ×3, first 2 shown]
	s_mov_b32 s21, 0x3fe7a5f6
	s_mov_b32 s5, 0x3fdc86fa
	s_mov_b32 s19, 0x3feca52d
	s_mov_b32 s53, 0xbfeca52d
	s_mov_b32 s7, 0x3fb79ee6
	v_add_f64 v[4:5], v[52:53], v[56:57]
	s_mov_b32 s15, 0x3fefdd0d
	v_add_f64 v[52:53], v[54:55], v[58:59]
	s_mov_b32 s43, 0xbfefdd0d
	s_mov_b32 s11, 0xbfd183b1
	s_mov_b32 s51, 0x3feec746
	s_mov_b32 s23, 0xbfeec746
	s_mov_b32 s17, 0xbfe348c8
	v_add_f64 v[4:5], v[48:49], v[4:5]
	s_mov_b32 s45, 0x3fe9895b
	v_add_f64 v[48:49], v[50:51], v[52:53]
	;; [unrolled: 8-line block ×3, first 2 shown]
	s_mov_b32 s41, 0xbfef7484
	v_add_f64 v[72:73], v[42:43], v[54:55]
	v_add_f64 v[64:65], v[54:55], -v[42:43]
	v_add_f64 v[106:107], v[20:21], v[24:25]
	v_add_f64 v[104:105], v[24:25], -v[20:21]
	v_add_f64 v[4:5], v[40:41], v[4:5]
	v_add_f64 v[110:111], v[14:15], v[6:7]
	;; [unrolled: 1-line block ×3, first 2 shown]
	v_mul_f64 v[42:43], v[108:109], s[34:35]
	v_mul_f64 v[52:53], v[116:117], s[52:53]
	v_mul_f64 v[58:59], v[116:117], s[42:43]
	v_mul_f64 v[120:121], v[116:117], s[28:29]
	s_mov_b32 s30, 0x5d8e7cdc
	v_add_f64 v[4:5], v[36:37], v[4:5]
	s_mov_b32 s26, 0x2a9d6da3
	v_add_f64 v[36:37], v[38:39], v[40:41]
	v_mul_f64 v[38:39], v[108:109], s[10:11]
	v_mul_f64 v[40:41], v[108:109], s[16:17]
	s_mov_b32 s54, 0x4363dd80
	s_mov_b32 s56, 0xacd6c6b4
	s_mov_b32 s31, 0x3fd71e95
	v_add_f64 v[4:5], v[32:33], v[4:5]
	s_mov_b32 s37, 0xbfd71e95
	v_add_f64 v[32:33], v[34:35], v[36:37]
	v_mul_f64 v[34:35], v[108:109], s[24:25]
	v_mul_f64 v[36:37], v[108:109], s[6:7]
	s_mov_b32 s27, 0x3fe58eea
	s_mov_b32 s49, 0xbfe58eea
	;; [unrolled: 8-line block ×3, first 2 shown]
	s_mov_b32 s38, s54
	v_add_f64 v[4:5], v[20:21], v[4:5]
	s_mov_b32 s57, 0x3fc7851a
	v_add_f64 v[20:21], v[22:23], v[28:29]
	s_mov_b32 s47, 0xbfc7851a
	s_mov_b32 s46, s56
	v_add_f64 v[100:101], v[22:23], v[26:27]
	v_add_f64 v[102:103], v[26:27], -v[22:23]
	v_add_f64 v[24:25], v[46:47], v[50:51]
	v_add_f64 v[4:5], v[16:17], v[4:5]
	v_add_f64 v[26:27], v[50:51], -v[46:47]
	v_add_f64 v[112:113], v[16:17], v[8:9]
	v_add_f64 v[8:9], v[8:9], -v[16:17]
	v_add_f64 v[6:7], v[6:7], -v[14:15]
	v_add_f64 v[16:17], v[18:19], v[20:21]
	v_mul_f64 v[48:49], v[116:117], s[36:37]
	v_mul_f64 v[50:51], v[116:117], s[48:49]
	v_add_f64 v[4:5], v[12:13], v[4:5]
	v_mul_f64 v[12:13], v[108:109], s[40:41]
	v_mul_f64 v[108:109], v[116:117], s[22:23]
	v_fma_f64 v[118:119], v[110:111], s[4:5], v[52:53]
	v_mul_f64 v[122:123], v[116:117], s[38:39]
	v_mul_f64 v[116:117], v[116:117], s[46:47]
	v_fma_f64 v[124:125], v[110:111], s[6:7], v[58:59]
	v_fma_f64 v[128:129], v[110:111], s[16:17], v[120:121]
	v_add_f64 v[114:115], v[18:19], v[10:11]
	v_add_f64 v[10:11], v[10:11], -v[18:19]
	v_fma_f64 v[126:127], v[110:111], s[10:11], v[108:109]
	v_fma_f64 v[22:23], v[6:7], s[30:31], v[34:35]
	;; [unrolled: 1-line block ×13, first 2 shown]
	v_add_f64 v[16:17], v[14:15], v[16:17]
	v_fma_f64 v[14:15], v[6:7], s[54:55], v[42:43]
	v_fma_f64 v[42:43], v[6:7], s[38:39], v[42:43]
	;; [unrolled: 1-line block ×5, first 2 shown]
	v_fma_f64 v[48:49], v[110:111], s[24:25], -v[48:49]
	v_fma_f64 v[56:57], v[110:111], s[20:21], v[50:51]
	v_fma_f64 v[50:51], v[110:111], s[20:21], -v[50:51]
	v_fma_f64 v[52:53], v[110:111], s[4:5], -v[52:53]
	;; [unrolled: 1-line block ×5, first 2 shown]
	v_fma_f64 v[130:131], v[110:111], s[34:35], v[122:123]
	v_fma_f64 v[122:123], v[110:111], s[34:35], -v[122:123]
	v_fma_f64 v[132:133], v[110:111], s[40:41], v[116:117]
	v_fma_f64 v[110:111], v[110:111], s[40:41], -v[116:117]
	v_add_f64 v[116:117], v[2:3], v[118:119]
	v_add_f64 v[118:119], v[2:3], v[124:125]
	;; [unrolled: 1-line block ×4, first 2 shown]
	v_mul_f64 v[128:129], v[112:113], s[20:21]
	v_mul_f64 v[134:135], v[8:9], s[48:49]
	;; [unrolled: 1-line block ×4, first 2 shown]
	v_add_f64 v[22:23], v[0:1], v[22:23]
	v_add_f64 v[12:13], v[2:3], v[12:13]
	;; [unrolled: 1-line block ×26, first 2 shown]
	v_fma_f64 v[136:137], v[10:11], s[26:27], v[128:129]
	v_fma_f64 v[140:141], v[114:115], s[20:21], v[134:135]
	;; [unrolled: 1-line block ×3, first 2 shown]
	v_add_f64 v[0:1], v[0:1], v[6:7]
	v_fma_f64 v[6:7], v[114:115], s[20:21], -v[134:135]
	v_add_f64 v[2:3], v[2:3], v[110:111]
	v_fma_f64 v[110:111], v[10:11], s[14:15], v[138:139]
	v_fma_f64 v[134:135], v[114:115], s[6:7], v[142:143]
	v_add_f64 v[22:23], v[136:137], v[22:23]
	v_add_f64 v[12:13], v[140:141], v[12:13]
	;; [unrolled: 1-line block ×3, first 2 shown]
	v_mul_f64 v[128:129], v[112:113], s[16:17]
	v_add_f64 v[6:7], v[6:7], v[48:49]
	v_mul_f64 v[48:49], v[8:9], s[28:29]
	v_fma_f64 v[136:137], v[10:11], s[42:43], v[138:139]
	v_add_f64 v[34:35], v[110:111], v[34:35]
	v_fma_f64 v[110:111], v[114:115], s[6:7], -v[142:143]
	v_add_f64 v[56:57], v[134:135], v[56:57]
	v_mul_f64 v[134:135], v[112:113], s[40:41]
	v_mul_f64 v[140:141], v[8:9], s[46:47]
	v_fma_f64 v[138:139], v[10:11], s[44:45], v[128:129]
	v_fma_f64 v[142:143], v[114:115], s[16:17], v[48:49]
	v_add_f64 v[30:31], v[136:137], v[30:31]
	v_fma_f64 v[128:129], v[10:11], s[28:29], v[128:129]
	v_add_f64 v[50:51], v[110:111], v[50:51]
	v_fma_f64 v[48:49], v[114:115], s[16:17], -v[48:49]
	v_fma_f64 v[110:111], v[10:11], s[56:57], v[134:135]
	v_fma_f64 v[136:137], v[114:115], s[40:41], v[140:141]
	v_add_f64 v[44:45], v[138:139], v[44:45]
	v_mul_f64 v[138:139], v[112:113], s[34:35]
	v_add_f64 v[116:117], v[142:143], v[116:117]
	v_add_f64 v[32:33], v[128:129], v[32:33]
	v_mul_f64 v[128:129], v[8:9], s[54:55]
	v_add_f64 v[48:49], v[48:49], v[52:53]
	v_add_f64 v[18:19], v[110:111], v[18:19]
	v_fma_f64 v[52:53], v[10:11], s[46:47], v[134:135]
	v_add_f64 v[110:111], v[136:137], v[118:119]
	v_fma_f64 v[118:119], v[114:115], s[40:41], -v[140:141]
	v_mul_f64 v[136:137], v[112:113], s[10:11]
	v_fma_f64 v[134:135], v[10:11], s[38:39], v[138:139]
	v_mul_f64 v[142:143], v[8:9], s[50:51]
	v_fma_f64 v[140:141], v[114:115], s[34:35], v[128:129]
	v_fma_f64 v[138:139], v[10:11], s[54:55], v[138:139]
	v_add_f64 v[20:21], v[52:53], v[20:21]
	v_fma_f64 v[52:53], v[114:115], s[34:35], -v[128:129]
	v_add_f64 v[58:59], v[118:119], v[58:59]
	v_fma_f64 v[118:119], v[10:11], s[22:23], v[136:137]
	v_add_f64 v[36:37], v[134:135], v[36:37]
	v_fma_f64 v[128:129], v[114:115], s[10:11], v[142:143]
	v_fma_f64 v[134:135], v[10:11], s[50:51], v[136:137]
	v_mul_f64 v[136:137], v[112:113], s[4:5]
	v_mul_f64 v[112:113], v[112:113], s[24:25]
	v_add_f64 v[52:53], v[52:53], v[108:109]
	v_fma_f64 v[108:109], v[114:115], s[10:11], -v[142:143]
	v_add_f64 v[46:47], v[118:119], v[46:47]
	v_mul_f64 v[118:119], v[8:9], s[18:19]
	v_mul_f64 v[8:9], v[8:9], s[30:31]
	v_add_f64 v[126:127], v[128:129], v[126:127]
	v_add_f64 v[40:41], v[134:135], v[40:41]
	v_fma_f64 v[128:129], v[10:11], s[18:19], v[136:137]
	v_fma_f64 v[134:135], v[10:11], s[36:37], v[112:113]
	v_add_f64 v[108:109], v[108:109], v[120:121]
	v_fma_f64 v[120:121], v[10:11], s[52:53], v[136:137]
	v_fma_f64 v[136:137], v[114:115], s[4:5], v[118:119]
	;; [unrolled: 1-line block ×3, first 2 shown]
	v_fma_f64 v[112:113], v[114:115], s[4:5], -v[118:119]
	v_fma_f64 v[118:119], v[114:115], s[24:25], v[8:9]
	v_fma_f64 v[8:9], v[114:115], s[24:25], -v[8:9]
	v_mul_f64 v[114:115], v[106:107], s[4:5]
	v_add_f64 v[42:43], v[128:129], v[42:43]
	v_add_f64 v[14:15], v[120:121], v[14:15]
	v_mul_f64 v[120:121], v[104:105], s[52:53]
	v_add_f64 v[54:55], v[134:135], v[54:55]
	v_add_f64 v[112:113], v[112:113], v[122:123]
	v_mul_f64 v[128:129], v[106:107], s[16:17]
	v_mul_f64 v[134:135], v[104:105], s[28:29]
	v_fma_f64 v[122:123], v[102:103], s[18:19], v[114:115]
	v_add_f64 v[118:119], v[118:119], v[132:133]
	v_fma_f64 v[114:115], v[102:103], s[52:53], v[114:115]
	v_fma_f64 v[132:133], v[100:101], s[4:5], v[120:121]
	v_add_f64 v[0:1], v[10:11], v[0:1]
	v_fma_f64 v[10:11], v[100:101], s[4:5], -v[120:121]
	v_add_f64 v[2:3], v[8:9], v[2:3]
	v_fma_f64 v[120:121], v[100:101], s[16:17], v[134:135]
	v_add_f64 v[8:9], v[122:123], v[22:23]
	v_fma_f64 v[22:23], v[102:103], s[44:45], v[128:129]
	v_add_f64 v[28:29], v[114:115], v[28:29]
	v_add_f64 v[12:13], v[132:133], v[12:13]
	v_mul_f64 v[114:115], v[106:107], s[40:41]
	v_add_f64 v[6:7], v[10:11], v[6:7]
	v_mul_f64 v[10:11], v[104:105], s[56:57]
	v_fma_f64 v[122:123], v[102:103], s[28:29], v[128:129]
	v_add_f64 v[56:57], v[120:121], v[56:57]
	v_add_f64 v[22:23], v[22:23], v[34:35]
	v_fma_f64 v[34:35], v[100:101], s[16:17], -v[134:135]
	v_mul_f64 v[120:121], v[106:107], s[10:11]
	v_mul_f64 v[132:133], v[104:105], s[50:51]
	v_fma_f64 v[128:129], v[102:103], s[46:47], v[114:115]
	v_fma_f64 v[134:135], v[100:101], s[40:41], v[10:11]
	v_add_f64 v[30:31], v[122:123], v[30:31]
	v_fma_f64 v[114:115], v[102:103], s[56:57], v[114:115]
	v_fma_f64 v[10:11], v[100:101], s[40:41], -v[10:11]
	v_add_f64 v[34:35], v[34:35], v[50:51]
	v_fma_f64 v[50:51], v[102:103], s[22:23], v[120:121]
	v_fma_f64 v[122:123], v[100:101], s[10:11], v[132:133]
	v_add_f64 v[44:45], v[128:129], v[44:45]
	v_mul_f64 v[128:129], v[106:107], s[20:21]
	v_add_f64 v[124:125], v[140:141], v[124:125]
	v_add_f64 v[32:33], v[114:115], v[32:33]
	v_mul_f64 v[114:115], v[104:105], s[26:27]
	v_add_f64 v[10:11], v[10:11], v[48:49]
	v_add_f64 v[18:19], v[50:51], v[18:19]
	v_fma_f64 v[48:49], v[102:103], s[50:51], v[120:121]
	v_add_f64 v[50:51], v[122:123], v[110:111]
	v_fma_f64 v[110:111], v[100:101], s[10:11], -v[132:133]
	v_mul_f64 v[122:123], v[106:107], s[24:25]
	v_add_f64 v[116:117], v[134:135], v[116:117]
	v_fma_f64 v[120:121], v[102:103], s[48:49], v[128:129]
	v_fma_f64 v[132:133], v[100:101], s[20:21], v[114:115]
	v_mul_f64 v[134:135], v[104:105], s[36:37]
	v_add_f64 v[20:21], v[48:49], v[20:21]
	v_fma_f64 v[48:49], v[100:101], s[20:21], -v[114:115]
	v_add_f64 v[58:59], v[110:111], v[58:59]
	v_fma_f64 v[110:111], v[102:103], s[30:31], v[122:123]
	v_fma_f64 v[122:123], v[102:103], s[36:37], v[122:123]
	v_add_f64 v[36:37], v[120:121], v[36:37]
	v_add_f64 v[114:115], v[132:133], v[124:125]
	v_fma_f64 v[120:121], v[100:101], s[24:25], v[134:135]
	v_mul_f64 v[124:125], v[106:107], s[6:7]
	v_add_f64 v[48:49], v[48:49], v[52:53]
	v_fma_f64 v[52:53], v[100:101], s[24:25], -v[134:135]
	v_add_f64 v[46:47], v[110:111], v[46:47]
	v_mul_f64 v[106:107], v[106:107], s[34:35]
	v_mul_f64 v[110:111], v[104:105], s[42:43]
	;; [unrolled: 1-line block ×3, first 2 shown]
	v_fma_f64 v[128:129], v[102:103], s[26:27], v[128:129]
	v_add_f64 v[120:121], v[120:121], v[126:127]
	v_add_f64 v[40:41], v[122:123], v[40:41]
	;; [unrolled: 1-line block ×3, first 2 shown]
	v_fma_f64 v[108:109], v[102:103], s[14:15], v[124:125]
	v_fma_f64 v[122:123], v[102:103], s[42:43], v[124:125]
	;; [unrolled: 1-line block ×5, first 2 shown]
	v_fma_f64 v[106:107], v[100:101], s[6:7], -v[110:111]
	v_fma_f64 v[110:111], v[100:101], s[34:35], v[104:105]
	v_fma_f64 v[100:101], v[100:101], s[34:35], -v[104:105]
	v_mul_f64 v[104:105], v[98:99], s[6:7]
	v_add_f64 v[14:15], v[108:109], v[14:15]
	v_mul_f64 v[108:109], v[96:97], s[42:43]
	v_add_f64 v[54:55], v[124:125], v[54:55]
	;; [unrolled: 2-line block ×3, first 2 shown]
	v_add_f64 v[110:111], v[110:111], v[118:119]
	v_mul_f64 v[118:119], v[98:99], s[40:41]
	v_add_f64 v[106:107], v[106:107], v[112:113]
	v_fma_f64 v[112:113], v[94:95], s[14:15], v[104:105]
	v_fma_f64 v[122:123], v[92:93], s[6:7], v[108:109]
	;; [unrolled: 1-line block ×3, first 2 shown]
	v_add_f64 v[0:1], v[102:103], v[0:1]
	v_fma_f64 v[102:103], v[92:93], s[6:7], -v[108:109]
	v_add_f64 v[2:3], v[100:101], v[2:3]
	v_fma_f64 v[100:101], v[94:95], s[56:57], v[118:119]
	v_fma_f64 v[108:109], v[92:93], s[40:41], v[124:125]
	v_add_f64 v[8:9], v[112:113], v[8:9]
	v_add_f64 v[12:13], v[122:123], v[12:13]
	v_add_f64 v[28:29], v[104:105], v[28:29]
	v_mul_f64 v[104:105], v[98:99], s[10:11]
	v_add_f64 v[6:7], v[102:103], v[6:7]
	v_mul_f64 v[102:103], v[96:97], s[50:51]
	v_fma_f64 v[112:113], v[94:95], s[46:47], v[118:119]
	v_add_f64 v[22:23], v[100:101], v[22:23]
	v_fma_f64 v[100:101], v[92:93], s[40:41], -v[124:125]
	v_add_f64 v[56:57], v[108:109], v[56:57]
	v_mul_f64 v[108:109], v[98:99], s[24:25]
	v_mul_f64 v[122:123], v[96:97], s[30:31]
	v_fma_f64 v[118:119], v[94:95], s[22:23], v[104:105]
	v_fma_f64 v[124:125], v[92:93], s[10:11], v[102:103]
	v_add_f64 v[30:31], v[112:113], v[30:31]
	v_fma_f64 v[104:105], v[94:95], s[50:51], v[104:105]
	v_add_f64 v[34:35], v[100:101], v[34:35]
	v_fma_f64 v[100:101], v[92:93], s[10:11], -v[102:103]
	v_fma_f64 v[102:103], v[94:95], s[36:37], v[108:109]
	v_fma_f64 v[112:113], v[92:93], s[24:25], v[122:123]
	v_add_f64 v[44:45], v[118:119], v[44:45]
	v_mul_f64 v[118:119], v[98:99], s[4:5]
	v_add_f64 v[38:39], v[138:139], v[38:39]
	v_add_f64 v[32:33], v[104:105], v[32:33]
	v_mul_f64 v[104:105], v[96:97], s[52:53]
	v_add_f64 v[10:11], v[100:101], v[10:11]
	v_add_f64 v[18:19], v[102:103], v[18:19]
	v_fma_f64 v[100:101], v[94:95], s[30:31], v[108:109]
	v_add_f64 v[50:51], v[112:113], v[50:51]
	v_fma_f64 v[102:103], v[92:93], s[24:25], -v[122:123]
	v_mul_f64 v[112:113], v[98:99], s[34:35]
	v_add_f64 v[116:117], v[124:125], v[116:117]
	v_fma_f64 v[108:109], v[94:95], s[18:19], v[118:119]
	v_fma_f64 v[122:123], v[92:93], s[4:5], v[104:105]
	v_mul_f64 v[124:125], v[96:97], s[38:39]
	v_add_f64 v[20:21], v[100:101], v[20:21]
	v_fma_f64 v[100:101], v[92:93], s[4:5], -v[104:105]
	v_add_f64 v[58:59], v[102:103], v[58:59]
	v_fma_f64 v[102:103], v[94:95], s[54:55], v[112:113]
	v_add_f64 v[38:39], v[128:129], v[38:39]
	v_fma_f64 v[118:119], v[94:95], s[52:53], v[118:119]
	v_add_f64 v[36:37], v[108:109], v[36:37]
	v_add_f64 v[104:105], v[122:123], v[114:115]
	v_fma_f64 v[108:109], v[92:93], s[34:35], v[124:125]
	v_fma_f64 v[112:113], v[94:95], s[38:39], v[112:113]
	v_add_f64 v[48:49], v[100:101], v[48:49]
	v_fma_f64 v[100:101], v[92:93], s[34:35], -v[124:125]
	v_mul_f64 v[114:115], v[98:99], s[16:17]
	v_add_f64 v[46:47], v[102:103], v[46:47]
	v_mul_f64 v[98:99], v[98:99], s[20:21]
	v_mul_f64 v[102:103], v[96:97], s[44:45]
	;; [unrolled: 1-line block ×3, first 2 shown]
	v_add_f64 v[38:39], v[118:119], v[38:39]
	v_add_f64 v[108:109], v[108:109], v[120:121]
	;; [unrolled: 1-line block ×4, first 2 shown]
	v_fma_f64 v[100:101], v[94:95], s[28:29], v[114:115]
	v_fma_f64 v[112:113], v[94:95], s[44:45], v[114:115]
	;; [unrolled: 1-line block ×5, first 2 shown]
	v_fma_f64 v[98:99], v[92:93], s[16:17], -v[102:103]
	v_fma_f64 v[102:103], v[92:93], s[20:21], v[96:97]
	v_fma_f64 v[92:93], v[92:93], s[20:21], -v[96:97]
	v_mul_f64 v[96:97], v[90:91], s[10:11]
	v_mul_f64 v[120:121], v[88:89], s[22:23]
	v_add_f64 v[42:43], v[112:113], v[42:43]
	v_mul_f64 v[112:113], v[90:91], s[34:35]
	v_add_f64 v[0:1], v[94:95], v[0:1]
	v_add_f64 v[98:99], v[98:99], v[106:107]
	;; [unrolled: 1-line block ×3, first 2 shown]
	v_mul_f64 v[94:95], v[88:89], s[54:55]
	v_fma_f64 v[106:107], v[86:87], s[50:51], v[96:97]
	v_fma_f64 v[110:111], v[84:85], s[10:11], v[120:121]
	;; [unrolled: 1-line block ×3, first 2 shown]
	v_add_f64 v[2:3], v[92:93], v[2:3]
	v_fma_f64 v[92:93], v[86:87], s[38:39], v[112:113]
	v_add_f64 v[130:131], v[136:137], v[130:131]
	v_add_f64 v[54:55], v[114:115], v[54:55]
	v_fma_f64 v[114:115], v[84:85], s[10:11], -v[120:121]
	v_add_f64 v[8:9], v[106:107], v[8:9]
	v_add_f64 v[12:13], v[110:111], v[12:13]
	v_mul_f64 v[106:107], v[90:91], s[20:21]
	v_fma_f64 v[110:111], v[84:85], s[34:35], v[94:95]
	v_add_f64 v[28:29], v[96:97], v[28:29]
	v_fma_f64 v[96:97], v[86:87], s[54:55], v[112:113]
	v_mul_f64 v[112:113], v[88:89], s[26:27]
	v_fma_f64 v[94:95], v[84:85], s[34:35], -v[94:95]
	v_add_f64 v[22:23], v[92:93], v[22:23]
	v_add_f64 v[126:127], v[126:127], v[130:131]
	v_fma_f64 v[92:93], v[86:87], s[48:49], v[106:107]
	v_add_f64 v[56:57], v[110:111], v[56:57]
	v_mul_f64 v[110:111], v[90:91], s[4:5]
	v_add_f64 v[6:7], v[114:115], v[6:7]
	v_mul_f64 v[114:115], v[88:89], s[52:53]
	v_add_f64 v[30:31], v[96:97], v[30:31]
	v_fma_f64 v[96:97], v[84:85], s[20:21], v[112:113]
	v_add_f64 v[34:35], v[94:95], v[34:35]
	v_fma_f64 v[94:95], v[86:87], s[26:27], v[106:107]
	v_add_f64 v[44:45], v[92:93], v[44:45]
	v_fma_f64 v[92:93], v[84:85], s[20:21], -v[112:113]
	v_fma_f64 v[106:107], v[86:87], s[18:19], v[110:111]
	v_add_f64 v[14:15], v[100:101], v[14:15]
	v_add_f64 v[100:101], v[118:119], v[126:127]
	v_fma_f64 v[112:113], v[84:85], s[4:5], v[114:115]
	v_fma_f64 v[110:111], v[86:87], s[52:53], v[110:111]
	v_mul_f64 v[118:119], v[90:91], s[40:41]
	v_add_f64 v[96:97], v[96:97], v[116:117]
	v_mul_f64 v[116:117], v[88:89], s[46:47]
	v_add_f64 v[10:11], v[92:93], v[10:11]
	v_add_f64 v[18:19], v[106:107], v[18:19]
	v_fma_f64 v[92:93], v[84:85], s[4:5], -v[114:115]
	v_mul_f64 v[106:107], v[90:91], s[6:7]
	v_add_f64 v[32:33], v[94:95], v[32:33]
	v_add_f64 v[50:51], v[112:113], v[50:51]
	v_fma_f64 v[94:95], v[86:87], s[56:57], v[118:119]
	v_fma_f64 v[112:113], v[84:85], s[40:41], v[116:117]
	;; [unrolled: 1-line block ×3, first 2 shown]
	v_mul_f64 v[118:119], v[88:89], s[14:15]
	v_add_f64 v[20:21], v[110:111], v[20:21]
	v_fma_f64 v[110:111], v[84:85], s[40:41], -v[116:117]
	v_add_f64 v[58:59], v[92:93], v[58:59]
	v_fma_f64 v[92:93], v[86:87], s[42:43], v[106:107]
	v_add_f64 v[36:37], v[94:95], v[36:37]
	v_add_f64 v[94:95], v[112:113], v[104:105]
	v_fma_f64 v[106:107], v[86:87], s[14:15], v[106:107]
	v_fma_f64 v[104:105], v[84:85], s[6:7], v[118:119]
	v_mul_f64 v[112:113], v[90:91], s[24:25]
	v_add_f64 v[48:49], v[110:111], v[48:49]
	v_fma_f64 v[110:111], v[84:85], s[6:7], -v[118:119]
	v_add_f64 v[46:47], v[92:93], v[46:47]
	v_mul_f64 v[90:91], v[90:91], s[16:17]
	v_mul_f64 v[92:93], v[88:89], s[36:37]
	;; [unrolled: 1-line block ×3, first 2 shown]
	v_add_f64 v[104:105], v[104:105], v[108:109]
	v_add_f64 v[40:41], v[106:107], v[40:41]
	v_fma_f64 v[106:107], v[86:87], s[30:31], v[112:113]
	v_add_f64 v[52:53], v[110:111], v[52:53]
	v_fma_f64 v[108:109], v[86:87], s[36:37], v[112:113]
	v_fma_f64 v[110:111], v[86:87], s[44:45], v[90:91]
	;; [unrolled: 1-line block ×4, first 2 shown]
	v_fma_f64 v[90:91], v[84:85], s[24:25], -v[92:93]
	v_fma_f64 v[92:93], v[84:85], s[16:17], v[88:89]
	v_fma_f64 v[84:85], v[84:85], s[16:17], -v[88:89]
	v_mul_f64 v[88:89], v[82:83], s[16:17]
	v_add_f64 v[14:15], v[106:107], v[14:15]
	v_mul_f64 v[106:107], v[80:81], s[28:29]
	v_add_f64 v[54:55], v[110:111], v[54:55]
	;; [unrolled: 2-line block ×3, first 2 shown]
	v_add_f64 v[92:93], v[92:93], v[102:103]
	v_mul_f64 v[102:103], v[82:83], s[10:11]
	v_fma_f64 v[98:99], v[78:79], s[44:45], v[88:89]
	v_add_f64 v[42:43], v[108:109], v[42:43]
	v_fma_f64 v[108:109], v[76:77], s[16:17], v[106:107]
	v_fma_f64 v[88:89], v[78:79], s[28:29], v[88:89]
	v_add_f64 v[0:1], v[86:87], v[0:1]
	v_fma_f64 v[86:87], v[76:77], s[16:17], -v[106:107]
	v_add_f64 v[2:3], v[84:85], v[2:3]
	v_fma_f64 v[84:85], v[78:79], s[22:23], v[102:103]
	v_add_f64 v[8:9], v[98:99], v[8:9]
	v_fma_f64 v[98:99], v[76:77], s[10:11], v[110:111]
	v_add_f64 v[12:13], v[108:109], v[12:13]
	v_add_f64 v[28:29], v[88:89], v[28:29]
	v_mul_f64 v[88:89], v[82:83], s[24:25]
	v_add_f64 v[6:7], v[86:87], v[6:7]
	v_mul_f64 v[86:87], v[80:81], s[36:37]
	v_fma_f64 v[102:103], v[78:79], s[50:51], v[102:103]
	v_add_f64 v[22:23], v[84:85], v[22:23]
	v_fma_f64 v[84:85], v[76:77], s[10:11], -v[110:111]
	v_add_f64 v[56:57], v[98:99], v[56:57]
	v_mul_f64 v[98:99], v[82:83], s[34:35]
	v_mul_f64 v[108:109], v[80:81], s[38:39]
	v_fma_f64 v[106:107], v[78:79], s[30:31], v[88:89]
	v_fma_f64 v[110:111], v[76:77], s[24:25], v[86:87]
	v_add_f64 v[30:31], v[102:103], v[30:31]
	v_fma_f64 v[88:89], v[78:79], s[36:37], v[88:89]
	v_add_f64 v[34:35], v[84:85], v[34:35]
	v_fma_f64 v[84:85], v[76:77], s[24:25], -v[86:87]
	v_fma_f64 v[86:87], v[78:79], s[54:55], v[98:99]
	v_fma_f64 v[102:103], v[76:77], s[34:35], v[108:109]
	v_add_f64 v[44:45], v[106:107], v[44:45]
	v_mul_f64 v[106:107], v[82:83], s[6:7]
	v_add_f64 v[96:97], v[110:111], v[96:97]
	v_add_f64 v[32:33], v[88:89], v[32:33]
	v_mul_f64 v[88:89], v[80:81], s[14:15]
	v_add_f64 v[10:11], v[84:85], v[10:11]
	v_add_f64 v[18:19], v[86:87], v[18:19]
	v_fma_f64 v[84:85], v[78:79], s[38:39], v[98:99]
	v_add_f64 v[50:51], v[102:103], v[50:51]
	v_fma_f64 v[86:87], v[76:77], s[34:35], -v[108:109]
	v_mul_f64 v[102:103], v[82:83], s[20:21]
	v_fma_f64 v[98:99], v[78:79], s[42:43], v[106:107]
	v_fma_f64 v[108:109], v[76:77], s[6:7], v[88:89]
	v_mul_f64 v[110:111], v[80:81], s[48:49]
	v_fma_f64 v[106:107], v[78:79], s[14:15], v[106:107]
	v_add_f64 v[20:21], v[84:85], v[20:21]
	v_fma_f64 v[84:85], v[76:77], s[6:7], -v[88:89]
	v_add_f64 v[58:59], v[86:87], v[58:59]
	v_fma_f64 v[86:87], v[78:79], s[26:27], v[102:103]
	v_add_f64 v[36:37], v[98:99], v[36:37]
	v_add_f64 v[88:89], v[108:109], v[94:95]
	v_fma_f64 v[94:95], v[76:77], s[20:21], v[110:111]
	v_fma_f64 v[98:99], v[78:79], s[48:49], v[102:103]
	v_mul_f64 v[102:103], v[82:83], s[40:41]
	v_add_f64 v[48:49], v[84:85], v[48:49]
	v_fma_f64 v[84:85], v[76:77], s[20:21], -v[110:111]
	v_add_f64 v[46:47], v[86:87], v[46:47]
	v_mul_f64 v[82:83], v[82:83], s[4:5]
	v_mul_f64 v[86:87], v[80:81], s[46:47]
	;; [unrolled: 1-line block ×3, first 2 shown]
	v_add_f64 v[94:95], v[94:95], v[104:105]
	v_add_f64 v[40:41], v[98:99], v[40:41]
	v_fma_f64 v[98:99], v[78:79], s[46:47], v[102:103]
	v_add_f64 v[52:53], v[84:85], v[52:53]
	v_fma_f64 v[84:85], v[78:79], s[56:57], v[102:103]
	v_fma_f64 v[102:103], v[78:79], s[52:53], v[82:83]
	;; [unrolled: 1-line block ×4, first 2 shown]
	v_fma_f64 v[82:83], v[76:77], s[40:41], -v[86:87]
	v_fma_f64 v[86:87], v[76:77], s[4:5], v[80:81]
	v_fma_f64 v[76:77], v[76:77], s[4:5], -v[80:81]
	v_mul_f64 v[80:81], v[74:75], s[34:35]
	v_add_f64 v[14:15], v[84:85], v[14:15]
	v_mul_f64 v[84:85], v[66:67], s[38:39]
	v_add_f64 v[54:55], v[102:103], v[54:55]
	;; [unrolled: 2-line block ×3, first 2 shown]
	v_add_f64 v[86:87], v[86:87], v[92:93]
	v_mul_f64 v[92:93], v[74:75], s[4:5]
	v_add_f64 v[82:83], v[82:83], v[90:91]
	v_fma_f64 v[90:91], v[64:65], s[54:55], v[80:81]
	v_fma_f64 v[98:99], v[72:73], s[34:35], v[84:85]
	;; [unrolled: 1-line block ×3, first 2 shown]
	v_add_f64 v[0:1], v[78:79], v[0:1]
	v_fma_f64 v[78:79], v[72:73], s[34:35], -v[84:85]
	v_add_f64 v[2:3], v[76:77], v[2:3]
	v_fma_f64 v[76:77], v[64:65], s[52:53], v[92:93]
	v_fma_f64 v[84:85], v[72:73], s[4:5], v[102:103]
	v_add_f64 v[8:9], v[90:91], v[8:9]
	v_add_f64 v[12:13], v[98:99], v[12:13]
	v_add_f64 v[28:29], v[80:81], v[28:29]
	v_mul_f64 v[80:81], v[74:75], s[6:7]
	v_add_f64 v[6:7], v[78:79], v[6:7]
	v_mul_f64 v[78:79], v[66:67], s[42:43]
	v_fma_f64 v[90:91], v[64:65], s[18:19], v[92:93]
	v_add_f64 v[22:23], v[76:77], v[22:23]
	v_fma_f64 v[76:77], v[72:73], s[4:5], -v[102:103]
	v_add_f64 v[56:57], v[84:85], v[56:57]
	v_mul_f64 v[84:85], v[74:75], s[16:17]
	v_mul_f64 v[98:99], v[66:67], s[44:45]
	v_fma_f64 v[92:93], v[64:65], s[14:15], v[80:81]
	v_fma_f64 v[102:103], v[72:73], s[6:7], v[78:79]
	v_add_f64 v[30:31], v[90:91], v[30:31]
	v_fma_f64 v[80:81], v[64:65], s[42:43], v[80:81]
	v_add_f64 v[34:35], v[76:77], v[34:35]
	v_fma_f64 v[76:77], v[72:73], s[6:7], -v[78:79]
	v_fma_f64 v[78:79], v[64:65], s[28:29], v[84:85]
	v_fma_f64 v[90:91], v[72:73], s[16:17], v[98:99]
	v_add_f64 v[44:45], v[92:93], v[44:45]
	v_add_f64 v[92:93], v[102:103], v[96:97]
	v_mul_f64 v[96:97], v[74:75], s[24:25]
	v_add_f64 v[32:33], v[80:81], v[32:33]
	v_mul_f64 v[80:81], v[66:67], s[36:37]
	v_add_f64 v[10:11], v[76:77], v[10:11]
	v_add_f64 v[18:19], v[78:79], v[18:19]
	v_fma_f64 v[76:77], v[64:65], s[44:45], v[84:85]
	v_add_f64 v[50:51], v[90:91], v[50:51]
	v_fma_f64 v[78:79], v[72:73], s[16:17], -v[98:99]
	v_mul_f64 v[90:91], v[74:75], s[40:41]
	v_add_f64 v[38:39], v[114:115], v[38:39]
	v_fma_f64 v[84:85], v[64:65], s[30:31], v[96:97]
	v_fma_f64 v[98:99], v[72:73], s[24:25], v[80:81]
	v_mul_f64 v[102:103], v[66:67], s[46:47]
	v_add_f64 v[20:21], v[76:77], v[20:21]
	v_fma_f64 v[76:77], v[72:73], s[24:25], -v[80:81]
	v_add_f64 v[58:59], v[78:79], v[58:59]
	v_fma_f64 v[78:79], v[64:65], s[56:57], v[90:91]
	v_add_f64 v[100:101], v[112:113], v[100:101]
	v_add_f64 v[38:39], v[106:107], v[38:39]
	v_fma_f64 v[96:97], v[64:65], s[36:37], v[96:97]
	v_add_f64 v[36:37], v[84:85], v[36:37]
	v_add_f64 v[80:81], v[98:99], v[88:89]
	v_fma_f64 v[84:85], v[72:73], s[40:41], v[102:103]
	v_fma_f64 v[88:89], v[64:65], s[46:47], v[90:91]
	v_add_f64 v[48:49], v[76:77], v[48:49]
	v_fma_f64 v[76:77], v[72:73], s[40:41], -v[102:103]
	v_mul_f64 v[90:91], v[74:75], s[20:21]
	v_add_f64 v[46:47], v[78:79], v[46:47]
	v_mul_f64 v[74:75], v[74:75], s[10:11]
	v_mul_f64 v[78:79], v[66:67], s[26:27]
	;; [unrolled: 1-line block ×3, first 2 shown]
	v_add_f64 v[100:101], v[104:105], v[100:101]
	v_add_f64 v[38:39], v[96:97], v[38:39]
	;; [unrolled: 1-line block ×5, first 2 shown]
	v_fma_f64 v[76:77], v[64:65], s[48:49], v[90:91]
	v_fma_f64 v[88:89], v[64:65], s[26:27], v[90:91]
	;; [unrolled: 1-line block ×5, first 2 shown]
	v_fma_f64 v[74:75], v[72:73], s[20:21], -v[78:79]
	v_fma_f64 v[78:79], v[72:73], s[10:11], v[66:67]
	v_fma_f64 v[66:67], v[72:73], s[10:11], -v[66:67]
	v_mul_f64 v[72:73], v[60:61], s[40:41]
	v_mul_f64 v[96:97], v[62:63], s[46:47]
	v_add_f64 v[14:15], v[76:77], v[14:15]
	v_add_f64 v[76:77], v[94:95], v[100:101]
	;; [unrolled: 1-line block ×6, first 2 shown]
	v_fma_f64 v[82:83], v[26:27], s[56:57], v[72:73]
	v_fma_f64 v[86:87], v[24:25], s[40:41], v[96:97]
	v_mul_f64 v[88:89], v[60:61], s[24:25]
	v_mul_f64 v[90:91], v[62:63], s[30:31]
	v_fma_f64 v[72:73], v[26:27], s[46:47], v[72:73]
	v_fma_f64 v[94:95], v[24:25], s[40:41], -v[96:97]
	v_add_f64 v[0:1], v[64:65], v[0:1]
	v_add_f64 v[2:3], v[66:67], v[2:3]
	;; [unrolled: 1-line block ×4, first 2 shown]
	v_fma_f64 v[12:13], v[26:27], s[36:37], v[88:89]
	v_fma_f64 v[66:67], v[24:25], s[24:25], v[90:91]
	v_add_f64 v[28:29], v[72:73], v[28:29]
	v_add_f64 v[72:73], v[94:95], v[6:7]
	v_mul_f64 v[6:7], v[60:61], s[34:35]
	v_mul_f64 v[82:83], v[62:63], s[38:39]
	v_fma_f64 v[86:87], v[26:27], s[30:31], v[88:89]
	v_fma_f64 v[88:89], v[24:25], s[24:25], -v[90:91]
	v_add_f64 v[12:13], v[12:13], v[22:23]
	v_add_f64 v[22:23], v[66:67], v[56:57]
	v_mul_f64 v[56:57], v[60:61], s[20:21]
	v_mul_f64 v[66:67], v[62:63], s[26:27]
	v_fma_f64 v[90:91], v[26:27], s[54:55], v[6:7]
	v_fma_f64 v[94:95], v[24:25], s[34:35], v[82:83]
	v_add_f64 v[30:31], v[86:87], v[30:31]
	v_add_f64 v[86:87], v[88:89], v[34:35]
	v_fma_f64 v[6:7], v[26:27], s[38:39], v[6:7]
	v_fma_f64 v[34:35], v[24:25], s[34:35], -v[82:83]
	v_fma_f64 v[82:83], v[26:27], s[48:49], v[56:57]
	v_fma_f64 v[88:89], v[24:25], s[20:21], v[66:67]
	v_add_f64 v[44:45], v[90:91], v[44:45]
	v_add_f64 v[90:91], v[94:95], v[92:93]
	v_mul_f64 v[92:93], v[60:61], s[16:17]
	v_mul_f64 v[94:95], v[62:63], s[28:29]
	v_add_f64 v[6:7], v[6:7], v[32:33]
	v_add_f64 v[96:97], v[34:35], v[10:11]
	;; [unrolled: 1-line block ×4, first 2 shown]
	v_fma_f64 v[32:33], v[26:27], s[26:27], v[56:57]
	v_fma_f64 v[34:35], v[24:25], s[20:21], -v[66:67]
	v_fma_f64 v[50:51], v[26:27], s[44:45], v[92:93]
	v_mul_f64 v[66:67], v[60:61], s[4:5]
	v_mul_f64 v[82:83], v[62:63], s[18:19]
	v_fma_f64 v[56:57], v[24:25], s[16:17], v[94:95]
	v_fma_f64 v[88:89], v[26:27], s[28:29], v[92:93]
	v_fma_f64 v[92:93], v[24:25], s[16:17], -v[94:95]
	v_add_f64 v[20:21], v[32:33], v[20:21]
	v_add_f64 v[58:59], v[34:35], v[58:59]
	;; [unrolled: 1-line block ×3, first 2 shown]
	v_fma_f64 v[34:35], v[26:27], s[52:53], v[66:67]
	v_fma_f64 v[50:51], v[24:25], s[4:5], v[82:83]
	v_add_f64 v[36:37], v[56:57], v[80:81]
	v_fma_f64 v[56:57], v[26:27], s[18:19], v[66:67]
	v_fma_f64 v[66:67], v[24:25], s[4:5], -v[82:83]
	v_mul_f64 v[80:81], v[60:61], s[10:11]
	v_mul_f64 v[82:83], v[62:63], s[22:23]
	v_add_f64 v[38:39], v[88:89], v[38:39]
	v_add_f64 v[34:35], v[34:35], v[46:47]
	;; [unrolled: 1-line block ×3, first 2 shown]
	v_mul_f64 v[50:51], v[60:61], s[6:7]
	v_mul_f64 v[60:61], v[62:63], s[14:15]
	v_add_f64 v[40:41], v[56:57], v[40:41]
	v_add_f64 v[56:57], v[66:67], v[52:53]
	v_fma_f64 v[52:53], v[26:27], s[50:51], v[80:81]
	v_fma_f64 v[62:63], v[24:25], s[10:11], v[82:83]
	;; [unrolled: 1-line block ×3, first 2 shown]
	v_fma_f64 v[80:81], v[24:25], s[10:11], -v[82:83]
	v_fma_f64 v[82:83], v[26:27], s[42:43], v[50:51]
	v_fma_f64 v[26:27], v[26:27], s[14:15], v[50:51]
	;; [unrolled: 1-line block ×3, first 2 shown]
	v_fma_f64 v[24:25], v[24:25], s[6:7], -v[60:61]
	v_add_f64 v[14:15], v[52:53], v[14:15]
	v_add_f64 v[50:51], v[62:63], v[76:77]
	;; [unrolled: 1-line block ×3, first 2 shown]
	s_movk_i32 s2, 0x88
	v_add_f64 v[52:53], v[82:83], v[54:55]
	v_add_f64 v[0:1], v[26:27], v[0:1]
	;; [unrolled: 1-line block ×4, first 2 shown]
	v_mad_u32_u24 v26, v68, s2, 0
	v_add_f64 v[60:61], v[80:81], v[74:75]
	ds_write2_b64 v26, v[4:5], v[8:9] offset1:1
	ds_write2_b64 v26, v[12:13], v[44:45] offset0:2 offset1:3
	ds_write2_b64 v26, v[10:11], v[32:33] offset0:4 offset1:5
	;; [unrolled: 1-line block ×7, first 2 shown]
	ds_write_b64 v26, v[28:29] offset:128
	v_lshlrev_b32_e32 v0, 7, v68
	v_add_f64 v[48:49], v[92:93], v[48:49]
	v_sub_u32_e32 v69, v26, v0
	v_add_u32_e32 v66, 0x400, v69
	v_add_u32_e32 v106, 0x800, v69
	;; [unrolled: 1-line block ×7, first 2 shown]
	s_movk_i32 s2, 0xf1
	s_waitcnt lgkmcnt(0)
	s_barrier
	ds_read2_b64 v[4:7], v69 offset1:102
	ds_read2_b64 v[0:3], v66 offset0:76 offset1:178
	ds_read2_b64 v[28:31], v106 offset0:152 offset1:254
	;; [unrolled: 1-line block ×7, first 2 shown]
	ds_read_b64 v[88:89], v69 offset:13056
	s_waitcnt lgkmcnt(0)
	s_barrier
	ds_write2_b64 v26, v[16:17], v[64:65] offset1:1
	ds_write2_b64 v26, v[22:23], v[90:91] offset0:2 offset1:3
	ds_write2_b64 v26, v[18:19], v[36:37] offset0:4 offset1:5
	;; [unrolled: 1-line block ×7, first 2 shown]
	ds_write_b64 v26, v[72:73] offset:128
	v_mul_lo_u16_sdwa v16, v68, s2 dst_sel:DWORD dst_unused:UNUSED_PAD src0_sel:BYTE_0 src1_sel:DWORD
	v_lshrrev_b16_e32 v50, 12, v16
	v_mul_lo_u16_e32 v16, 17, v50
	v_sub_u16_e32 v51, v68, v16
	v_mov_b32_e32 v16, 8
	v_lshlrev_b32_sdwa v16, v16, v51 dst_sel:DWORD dst_unused:UNUSED_PAD src0_sel:DWORD src1_sel:BYTE_0
	s_waitcnt lgkmcnt(0)
	s_barrier
	global_load_dwordx4 v[36:39], v16, s[8:9] offset:16
	global_load_dwordx4 v[44:47], v16, s[8:9] offset:32
	;; [unrolled: 1-line block ×11, first 2 shown]
	global_load_dwordx4 v[121:124], v16, s[8:9]
	global_load_dwordx4 v[125:128], v16, s[8:9] offset:176
	global_load_dwordx4 v[20:23], v16, s[8:9] offset:192
	;; [unrolled: 1-line block ×3, first 2 shown]
	s_nop 0
	global_load_dwordx4 v[16:19], v16, s[8:9] offset:224
	ds_read2_b64 v[64:67], v66 offset0:76 offset1:178
	ds_read2_b64 v[129:132], v106 offset0:152 offset1:254
	v_mul_u32_u24_e32 v50, 0x908, v50
	s_movk_i32 s2, 0x55
	v_cmp_gt_u32_e64 s[2:3], s2, v68
	s_waitcnt vmcnt(15) lgkmcnt(1)
	v_mul_f64 v[48:49], v[64:65], v[38:39]
	v_mul_f64 v[38:39], v[0:1], v[38:39]
	s_waitcnt vmcnt(14)
	v_mul_f64 v[76:77], v[66:67], v[46:47]
	v_mul_f64 v[46:47], v[2:3], v[46:47]
	v_fma_f64 v[90:91], v[0:1], v[36:37], -v[48:49]
	s_waitcnt vmcnt(13) lgkmcnt(0)
	v_mul_f64 v[0:1], v[129:130], v[58:59]
	v_mul_f64 v[48:49], v[28:29], v[58:59]
	s_waitcnt vmcnt(12)
	v_mul_f64 v[58:59], v[131:132], v[62:63]
	v_fma_f64 v[82:83], v[64:65], v[36:37], v[38:39]
	ds_read2_b64 v[36:39], v107 offset0:100 offset1:202
	v_fma_f64 v[86:87], v[2:3], v[44:45], -v[76:77]
	v_fma_f64 v[84:85], v[66:67], v[44:45], v[46:47]
	v_mul_f64 v[44:45], v[30:31], v[62:63]
	v_fma_f64 v[78:79], v[28:29], v[56:57], -v[0:1]
	s_waitcnt vmcnt(11) lgkmcnt(0)
	v_mul_f64 v[46:47], v[36:37], v[74:75]
	v_mul_f64 v[28:29], v[32:33], v[74:75]
	v_fma_f64 v[66:67], v[30:31], v[60:61], -v[58:59]
	s_waitcnt vmcnt(10)
	v_mul_f64 v[30:31], v[38:39], v[94:95]
	ds_read2_b64 v[0:3], v108 offset0:48 offset1:150
	v_fma_f64 v[76:77], v[129:130], v[56:57], v[48:49]
	v_fma_f64 v[64:65], v[131:132], v[60:61], v[44:45]
	s_waitcnt vmcnt(9)
	v_mul_f64 v[48:49], v[40:41], v[98:99]
	v_fma_f64 v[46:47], v[32:33], v[72:73], -v[46:47]
	v_mul_f64 v[32:33], v[34:35], v[94:95]
	v_fma_f64 v[44:45], v[36:37], v[72:73], v[28:29]
	s_waitcnt lgkmcnt(0)
	v_mul_f64 v[28:29], v[0:1], v[98:99]
	v_fma_f64 v[36:37], v[34:35], v[92:93], -v[30:31]
	s_waitcnt vmcnt(8)
	v_mul_f64 v[30:31], v[2:3], v[102:103]
	v_mul_f64 v[60:61], v[42:43], v[102:103]
	ds_read2_b64 v[56:59], v80 offset0:124 offset1:226
	s_waitcnt vmcnt(7)
	v_mul_f64 v[72:73], v[52:53], v[111:112]
	v_fma_f64 v[38:39], v[38:39], v[92:93], v[32:33]
	v_fma_f64 v[32:33], v[40:41], v[96:97], -v[28:29]
	v_fma_f64 v[28:29], v[0:1], v[96:97], v[48:49]
	v_fma_f64 v[34:35], v[42:43], v[100:101], -v[30:31]
	v_fma_f64 v[30:31], v[2:3], v[100:101], v[60:61]
	ds_read2_b64 v[96:99], v81 offset0:72 offset1:174
	ds_read2_b64 v[0:3], v69 offset1:102
	s_waitcnt lgkmcnt(2)
	v_mul_f64 v[62:63], v[56:57], v[111:112]
	s_waitcnt vmcnt(6)
	v_mul_f64 v[48:49], v[58:59], v[115:116]
	v_fma_f64 v[40:41], v[56:57], v[109:110], v[72:73]
	s_waitcnt vmcnt(4)
	v_mul_f64 v[60:61], v[6:7], v[123:124]
	s_waitcnt lgkmcnt(0)
	v_mul_f64 v[74:75], v[2:3], v[123:124]
	v_mul_f64 v[72:73], v[54:55], v[115:116]
	ds_read_b64 v[56:57], v69 offset:13056
	s_waitcnt vmcnt(3)
	v_mul_f64 v[100:101], v[12:13], v[127:128]
	v_fma_f64 v[42:43], v[52:53], v[109:110], -v[62:63]
	v_fma_f64 v[62:63], v[54:55], v[113:114], -v[48:49]
	v_mul_f64 v[54:55], v[96:97], v[127:128]
	v_mul_f64 v[52:53], v[88:89], v[119:120]
	v_fma_f64 v[94:95], v[6:7], v[121:122], -v[74:75]
	s_waitcnt lgkmcnt(0)
	v_mul_f64 v[102:103], v[56:57], v[119:120]
	v_fma_f64 v[92:93], v[2:3], v[121:122], v[60:61]
	s_waitcnt vmcnt(2)
	v_mul_f64 v[2:3], v[98:99], v[22:23]
	v_fma_f64 v[48:49], v[58:59], v[113:114], v[72:73]
	v_fma_f64 v[72:73], v[96:97], v[125:126], v[100:101]
	v_fma_f64 v[74:75], v[12:13], v[125:126], -v[54:55]
	v_mul_f64 v[12:13], v[14:15], v[22:23]
	v_add_f64 v[22:23], v[4:5], v[94:95]
	v_fma_f64 v[80:81], v[56:57], v[117:118], v[52:53]
	ds_read2_b64 v[52:55], v104 offset0:148 offset1:250
	v_fma_f64 v[96:97], v[88:89], v[117:118], -v[102:103]
	v_fma_f64 v[88:89], v[14:15], v[20:21], -v[2:3]
	s_waitcnt vmcnt(1)
	v_mul_f64 v[14:15], v[8:9], v[26:27]
	v_add_f64 v[132:133], v[64:65], -v[72:73]
	s_waitcnt vmcnt(0) lgkmcnt(0)
	v_mul_f64 v[56:57], v[54:55], v[18:19]
	v_mul_f64 v[18:19], v[10:11], v[18:19]
	;; [unrolled: 1-line block ×3, first 2 shown]
	v_add_f64 v[22:23], v[22:23], v[90:91]
	v_add_f64 v[6:7], v[92:93], -v[80:81]
	v_fma_f64 v[26:27], v[98:99], v[20:21], v[12:13]
	v_add_f64 v[58:59], v[94:95], v[96:97]
	v_fma_f64 v[100:101], v[52:53], v[24:25], v[14:15]
	v_fma_f64 v[104:105], v[10:11], v[16:17], -v[56:57]
	v_fma_f64 v[98:99], v[54:55], v[16:17], v[18:19]
	v_fma_f64 v[102:103], v[8:9], v[24:25], -v[2:3]
	v_add_f64 v[8:9], v[22:23], v[86:87]
	v_mul_f64 v[60:61], v[6:7], s[36:37]
	v_mul_f64 v[12:13], v[6:7], s[48:49]
	;; [unrolled: 1-line block ×3, first 2 shown]
	v_add_f64 v[114:115], v[84:85], -v[100:101]
	v_mul_f64 v[18:19], v[6:7], s[42:43]
	v_add_f64 v[52:53], v[82:83], -v[98:99]
	v_mul_f64 v[20:21], v[6:7], s[22:23]
	v_add_f64 v[8:9], v[8:9], v[78:79]
	v_fma_f64 v[10:11], v[58:59], s[24:25], -v[60:61]
	v_fma_f64 v[14:15], v[58:59], s[24:25], v[60:61]
	v_add_f64 v[60:61], v[90:91], v[104:105]
	v_mul_f64 v[24:25], v[6:7], s[28:29]
	v_mul_f64 v[54:55], v[6:7], s[38:39]
	;; [unrolled: 1-line block ×4, first 2 shown]
	v_add_f64 v[8:9], v[8:9], v[66:67]
	v_add_f64 v[10:11], v[4:5], v[10:11]
	;; [unrolled: 1-line block ×3, first 2 shown]
	v_mul_f64 v[122:123], v[114:115], s[52:53]
	v_add_f64 v[126:127], v[76:77], -v[26:27]
	v_fma_f64 v[16:17], v[58:59], s[20:21], -v[12:13]
	v_fma_f64 v[118:119], v[60:61], s[20:21], -v[110:111]
	v_fma_f64 v[12:13], v[58:59], s[20:21], v[12:13]
	v_add_f64 v[8:9], v[8:9], v[46:47]
	v_fma_f64 v[22:23], v[58:59], s[4:5], -v[2:3]
	v_fma_f64 v[2:3], v[58:59], s[4:5], v[2:3]
	v_fma_f64 v[56:57], v[58:59], s[6:7], -v[18:19]
	v_fma_f64 v[18:19], v[58:59], s[6:7], v[18:19]
	;; [unrolled: 2-line block ×6, first 2 shown]
	v_add_f64 v[10:11], v[118:119], v[10:11]
	v_fma_f64 v[58:59], v[120:121], s[4:5], -v[122:123]
	v_add_f64 v[118:119], v[78:79], v[88:89]
	v_mul_f64 v[130:131], v[126:127], s[42:43]
	v_add_f64 v[8:9], v[8:9], v[36:37]
	v_add_f64 v[134:135], v[66:67], v[74:75]
	v_mul_f64 v[136:137], v[132:133], s[22:23]
	v_add_f64 v[138:139], v[44:45], -v[48:49]
	v_add_f64 v[140:141], v[46:47], v[62:63]
	v_add_f64 v[10:11], v[58:59], v[10:11]
	v_add_f64 v[144:145], v[38:39], -v[40:41]
	v_fma_f64 v[58:59], v[118:119], s[6:7], -v[130:131]
	v_add_f64 v[8:9], v[8:9], v[32:33]
	v_add_f64 v[146:147], v[36:37], v[42:43]
	v_add_f64 v[150:151], v[28:29], -v[30:31]
	v_mul_f64 v[142:143], v[138:139], s[28:29]
	v_mul_f64 v[152:153], v[52:53], s[42:43]
	;; [unrolled: 1-line block ×4, first 2 shown]
	v_add_f64 v[10:11], v[58:59], v[10:11]
	v_fma_f64 v[58:59], v[134:135], s[10:11], -v[136:137]
	v_add_f64 v[8:9], v[8:9], v[34:35]
	v_add_f64 v[156:157], v[32:33], v[34:35]
	v_mul_f64 v[158:159], v[150:151], s[46:47]
	v_add_f64 v[16:17], v[4:5], v[16:17]
	v_add_f64 v[22:23], v[4:5], v[22:23]
	v_fma_f64 v[160:161], v[60:61], s[6:7], -v[152:153]
	v_fma_f64 v[162:163], v[60:61], s[16:17], -v[154:155]
	v_add_f64 v[10:11], v[58:59], v[10:11]
	v_fma_f64 v[58:59], v[140:141], s[16:17], -v[142:143]
	v_add_f64 v[8:9], v[8:9], v[42:43]
	v_mul_f64 v[164:165], v[114:115], s[28:29]
	v_mul_f64 v[166:167], v[114:115], s[56:57]
	;; [unrolled: 1-line block ×4, first 2 shown]
	v_add_f64 v[14:15], v[4:5], v[14:15]
	v_add_f64 v[12:13], v[4:5], v[12:13]
	;; [unrolled: 1-line block ×3, first 2 shown]
	v_fma_f64 v[58:59], v[146:147], s[34:35], -v[148:149]
	v_add_f64 v[8:9], v[8:9], v[62:63]
	v_add_f64 v[2:3], v[4:5], v[2:3]
	;; [unrolled: 1-line block ×13, first 2 shown]
	v_fma_f64 v[10:11], v[156:157], s[40:41], -v[158:159]
	v_add_f64 v[8:9], v[8:9], v[74:75]
	v_add_f64 v[16:17], v[160:161], v[16:17]
	;; [unrolled: 1-line block ×3, first 2 shown]
	v_fma_f64 v[58:59], v[120:121], s[16:17], -v[164:165]
	v_fma_f64 v[160:161], v[120:121], s[40:41], -v[166:167]
	v_mul_f64 v[162:163], v[126:127], s[46:47]
	v_mul_f64 v[168:169], v[126:127], s[50:51]
	v_fma_f64 v[204:205], v[60:61], s[10:11], -v[196:197]
	v_fma_f64 v[206:207], v[60:61], s[4:5], -v[198:199]
	v_mul_f64 v[208:209], v[114:115], s[36:37]
	v_mul_f64 v[210:211], v[114:115], s[42:43]
	v_add_f64 v[6:7], v[10:11], v[6:7]
	v_mov_b32_e32 v10, 3
	v_add_f64 v[8:9], v[8:9], v[88:89]
	v_lshlrev_b32_sdwa v51, v10, v51 dst_sel:DWORD dst_unused:UNUSED_PAD src0_sel:DWORD src1_sel:BYTE_0
	v_add_f64 v[10:11], v[58:59], v[16:17]
	v_add_f64 v[16:17], v[160:161], v[22:23]
	v_fma_f64 v[22:23], v[118:119], s[40:41], -v[162:163]
	v_fma_f64 v[58:59], v[118:119], s[10:11], -v[168:169]
	v_mul_f64 v[160:161], v[132:133], s[54:55]
	v_mul_f64 v[170:171], v[132:133], s[26:27]
	v_add_f64 v[116:117], v[204:205], v[116:117]
	v_add_f64 v[124:125], v[206:207], v[124:125]
	v_fma_f64 v[204:205], v[120:121], s[24:25], -v[208:209]
	v_fma_f64 v[206:207], v[120:121], s[6:7], -v[210:211]
	v_mul_f64 v[212:213], v[126:127], s[38:39]
	v_mul_f64 v[214:215], v[126:127], s[44:45]
	v_add_f64 v[8:9], v[8:9], v[102:103]
	v_add3_u32 v109, 0, v50, v51
	v_add_f64 v[10:11], v[22:23], v[10:11]
	v_add_f64 v[16:17], v[58:59], v[16:17]
	v_fma_f64 v[22:23], v[134:135], s[34:35], -v[160:161]
	v_fma_f64 v[50:51], v[134:135], s[20:21], -v[170:171]
	v_mul_f64 v[58:59], v[138:139], s[50:51]
	v_mul_f64 v[172:173], v[138:139], s[36:37]
	;; [unrolled: 1-line block ×4, first 2 shown]
	v_add_f64 v[116:117], v[204:205], v[116:117]
	v_add_f64 v[124:125], v[206:207], v[124:125]
	v_fma_f64 v[204:205], v[118:119], s[34:35], -v[212:213]
	v_fma_f64 v[206:207], v[118:119], s[16:17], -v[214:215]
	v_mul_f64 v[220:221], v[132:133], s[14:15]
	v_add_f64 v[8:9], v[8:9], v[104:105]
	v_add_f64 v[10:11], v[22:23], v[10:11]
	;; [unrolled: 1-line block ×3, first 2 shown]
	v_fma_f64 v[22:23], v[140:141], s[10:11], -v[58:59]
	v_fma_f64 v[50:51], v[140:141], s[24:25], -v[172:173]
	v_mul_f64 v[178:179], v[144:145], s[18:19]
	v_mul_f64 v[180:181], v[144:145], s[42:43]
	v_fma_f64 v[182:183], v[60:61], s[40:41], -v[174:175]
	v_fma_f64 v[184:185], v[60:61], s[34:35], -v[176:177]
	v_mul_f64 v[186:187], v[114:115], s[50:51]
	v_mul_f64 v[188:189], v[114:115], s[26:27]
	v_add_f64 v[116:117], v[204:205], v[116:117]
	v_add_f64 v[124:125], v[206:207], v[124:125]
	v_fma_f64 v[204:205], v[134:135], s[6:7], -v[220:221]
	v_mul_f64 v[206:207], v[138:139], s[48:49]
	v_mul_f64 v[52:53], v[52:53], s[30:31]
	v_add_f64 v[8:9], v[8:9], v[96:97]
	v_add_f64 v[10:11], v[22:23], v[10:11]
	;; [unrolled: 1-line block ×3, first 2 shown]
	v_fma_f64 v[22:23], v[146:147], s[4:5], -v[178:179]
	v_fma_f64 v[50:51], v[146:147], s[6:7], -v[180:181]
	v_add_f64 v[56:57], v[182:183], v[56:57]
	v_add_f64 v[112:113], v[184:185], v[112:113]
	v_fma_f64 v[182:183], v[120:121], s[10:11], -v[186:187]
	v_fma_f64 v[184:185], v[120:121], s[20:21], -v[188:189]
	v_mul_f64 v[190:191], v[126:127], s[30:31]
	v_mul_f64 v[192:193], v[126:127], s[52:53]
	v_add_f64 v[116:117], v[204:205], v[116:117]
	v_fma_f64 v[204:205], v[140:141], s[20:21], -v[206:207]
	v_fma_f64 v[230:231], v[60:61], s[24:25], -v[52:53]
	v_mul_f64 v[114:115], v[114:115], s[38:39]
	v_fma_f64 v[52:53], v[60:61], s[24:25], v[52:53]
	s_barrier
	ds_write2_b64 v109, v[8:9], v[6:7] offset1:17
	v_add_f64 v[6:7], v[22:23], v[10:11]
	v_add_f64 v[10:11], v[50:51], v[16:17]
	;; [unrolled: 1-line block ×4, first 2 shown]
	v_fma_f64 v[50:51], v[118:119], s[24:25], -v[190:191]
	v_fma_f64 v[56:57], v[118:119], s[4:5], -v[192:193]
	v_mul_f64 v[112:113], v[132:133], s[52:53]
	v_mul_f64 v[182:183], v[132:133], s[46:47]
	v_add_f64 v[116:117], v[204:205], v[116:117]
	v_add_f64 v[128:129], v[230:231], v[128:129]
	v_fma_f64 v[204:205], v[120:121], s[34:35], -v[114:115]
	v_mul_f64 v[126:127], v[126:127], s[26:27]
	v_add_f64 v[4:5], v[52:53], v[4:5]
	v_fma_f64 v[114:115], v[120:121], s[34:35], v[114:115]
	v_add_f64 v[16:17], v[50:51], v[16:17]
	v_add_f64 v[22:23], v[56:57], v[22:23]
	v_fma_f64 v[50:51], v[134:135], s[4:5], -v[112:113]
	v_fma_f64 v[56:57], v[134:135], s[40:41], -v[182:183]
	v_mul_f64 v[200:201], v[138:139], s[38:39]
	v_mul_f64 v[222:223], v[132:133], s[36:37]
	v_add_f64 v[52:53], v[204:205], v[128:129]
	v_fma_f64 v[128:129], v[118:119], s[20:21], -v[126:127]
	v_mul_f64 v[132:133], v[132:133], s[28:29]
	v_add_f64 v[4:5], v[114:115], v[4:5]
	v_fma_f64 v[114:115], v[118:119], s[20:21], v[126:127]
	v_add_f64 v[16:17], v[50:51], v[16:17]
	v_add_f64 v[22:23], v[56:57], v[22:23]
	v_fma_f64 v[50:51], v[140:141], s[34:35], -v[200:201]
	v_mul_f64 v[56:57], v[138:139], s[14:15]
	v_add_f64 v[52:53], v[128:129], v[52:53]
	v_fma_f64 v[126:127], v[134:135], s[16:17], -v[132:133]
	v_mul_f64 v[216:217], v[144:145], s[44:45]
	v_add_f64 v[4:5], v[114:115], v[4:5]
	v_fma_f64 v[114:115], v[134:135], s[16:17], v[132:133]
	v_fma_f64 v[128:129], v[60:61], s[4:5], v[198:199]
	v_add_f64 v[16:17], v[50:51], v[16:17]
	v_fma_f64 v[50:51], v[140:141], s[6:7], -v[56:57]
	v_fma_f64 v[110:111], v[60:61], s[20:21], v[110:111]
	v_add_f64 v[52:53], v[126:127], v[52:53]
	v_fma_f64 v[126:127], v[60:61], s[10:11], v[196:197]
	v_fma_f64 v[132:133], v[60:61], s[6:7], v[152:153]
	;; [unrolled: 1-line block ×5, first 2 shown]
	v_add_f64 v[4:5], v[114:115], v[4:5]
	v_mul_f64 v[114:115], v[138:139], s[18:19]
	v_add_f64 v[22:23], v[50:51], v[22:23]
	v_fma_f64 v[50:51], v[146:147], s[16:17], -v[216:217]
	v_add_f64 v[24:25], v[126:127], v[24:25]
	v_add_f64 v[54:55], v[128:129], v[54:55]
	;; [unrolled: 1-line block ×5, first 2 shown]
	v_fma_f64 v[60:61], v[140:141], s[4:5], -v[114:115]
	v_fma_f64 v[110:111], v[120:121], s[24:25], v[208:209]
	v_add_f64 v[16:17], v[50:51], v[16:17]
	v_mul_f64 v[50:51], v[138:139], s[46:47]
	v_fma_f64 v[126:127], v[120:121], s[6:7], v[210:211]
	v_fma_f64 v[122:123], v[120:121], s[4:5], v[122:123]
	;; [unrolled: 1-line block ×6, first 2 shown]
	v_add_f64 v[52:53], v[60:61], v[52:53]
	v_fma_f64 v[60:61], v[140:141], s[4:5], v[114:115]
	v_add_f64 v[18:19], v[154:155], v[18:19]
	v_add_f64 v[2:3], v[152:153], v[2:3]
	;; [unrolled: 1-line block ×7, first 2 shown]
	v_fma_f64 v[110:111], v[118:119], s[34:35], v[212:213]
	v_fma_f64 v[114:115], v[118:119], s[16:17], v[214:215]
	;; [unrolled: 1-line block ×7, first 2 shown]
	v_add_f64 v[4:5], v[60:61], v[4:5]
	v_mul_f64 v[60:61], v[144:145], s[22:23]
	v_add_f64 v[18:19], v[138:139], v[18:19]
	v_add_f64 v[2:3], v[132:133], v[2:3]
	v_fma_f64 v[228:229], v[134:135], s[24:25], -v[222:223]
	v_add_f64 v[24:25], v[110:111], v[24:25]
	v_add_f64 v[54:55], v[114:115], v[54:55]
	;; [unrolled: 1-line block ×3, first 2 shown]
	v_fma_f64 v[118:119], v[134:135], s[24:25], v[222:223]
	v_fma_f64 v[110:111], v[146:147], s[10:11], -v[60:61]
	v_fma_f64 v[60:61], v[146:147], s[10:11], v[60:61]
	v_add_f64 v[12:13], v[122:123], v[12:13]
	v_add_f64 v[18:19], v[128:129], v[18:19]
	v_fma_f64 v[114:115], v[134:135], s[6:7], v[220:221]
	v_fma_f64 v[122:123], v[134:135], s[34:35], v[160:161]
	;; [unrolled: 1-line block ×3, first 2 shown]
	v_add_f64 v[14:15], v[120:121], v[14:15]
	v_fma_f64 v[120:121], v[134:135], s[10:11], v[136:137]
	v_fma_f64 v[112:113], v[134:135], s[4:5], v[112:113]
	v_add_f64 v[2:3], v[126:127], v[2:3]
	v_fma_f64 v[126:127], v[134:135], s[20:21], v[170:171]
	v_mul_f64 v[218:219], v[144:145], s[36:37]
	v_add_f64 v[124:125], v[228:229], v[124:125]
	v_fma_f64 v[228:229], v[140:141], s[40:41], -v[50:51]
	v_mul_f64 v[234:235], v[144:145], s[46:47]
	v_mul_f64 v[236:237], v[144:145], s[26:27]
	v_add_f64 v[54:55], v[118:119], v[54:55]
	v_fma_f64 v[50:51], v[140:141], s[40:41], v[50:51]
	v_add_f64 v[4:5], v[60:61], v[4:5]
	v_mul_f64 v[60:61], v[150:151], s[14:15]
	v_add_f64 v[52:53], v[110:111], v[52:53]
	v_add_f64 v[24:25], v[114:115], v[24:25]
	;; [unrolled: 1-line block ×4, first 2 shown]
	v_fma_f64 v[110:111], v[140:141], s[20:21], v[206:207]
	v_fma_f64 v[58:59], v[140:141], s[10:11], v[58:59]
	v_fma_f64 v[56:57], v[140:141], s[6:7], v[56:57]
	v_add_f64 v[14:15], v[120:121], v[14:15]
	v_add_f64 v[18:19], v[112:113], v[18:19]
	v_fma_f64 v[112:113], v[140:141], s[16:17], v[142:143]
	v_fma_f64 v[118:119], v[140:141], s[34:35], v[200:201]
	v_add_f64 v[2:3], v[126:127], v[2:3]
	v_fma_f64 v[114:115], v[140:141], s[24:25], v[172:173]
	v_mul_f64 v[8:9], v[150:151], s[30:31]
	v_mul_f64 v[194:195], v[150:151], s[38:39]
	v_fma_f64 v[224:225], v[146:147], s[24:25], -v[218:219]
	v_mul_f64 v[226:227], v[150:151], s[26:27]
	v_mul_f64 v[232:233], v[150:151], s[28:29]
	v_add_f64 v[124:125], v[228:229], v[124:125]
	v_fma_f64 v[228:229], v[146:147], s[40:41], -v[234:235]
	v_fma_f64 v[230:231], v[146:147], s[20:21], -v[236:237]
	v_mul_f64 v[238:239], v[150:151], s[18:19]
	v_mul_f64 v[240:241], v[150:151], s[22:23]
	v_add_f64 v[50:51], v[50:51], v[54:55]
	v_fma_f64 v[54:55], v[156:157], s[6:7], -v[60:61]
	v_add_f64 v[24:25], v[110:111], v[24:25]
	v_add_f64 v[12:13], v[58:59], v[12:13]
	;; [unrolled: 1-line block ×3, first 2 shown]
	v_fma_f64 v[56:57], v[146:147], s[40:41], v[234:235]
	v_fma_f64 v[58:59], v[146:147], s[20:21], v[236:237]
	v_add_f64 v[14:15], v[112:113], v[14:15]
	v_add_f64 v[18:19], v[118:119], v[18:19]
	v_fma_f64 v[110:111], v[146:147], s[34:35], v[148:149]
	v_fma_f64 v[118:119], v[146:147], s[16:17], v[216:217]
	;; [unrolled: 1-line block ×3, first 2 shown]
	v_add_f64 v[2:3], v[114:115], v[2:3]
	v_fma_f64 v[112:113], v[146:147], s[4:5], v[178:179]
	v_fma_f64 v[114:115], v[146:147], s[6:7], v[180:181]
	v_fma_f64 v[184:185], v[156:157], s[24:25], -v[8:9]
	v_fma_f64 v[202:203], v[156:157], s[34:35], -v[194:195]
	v_add_f64 v[22:23], v[224:225], v[22:23]
	v_fma_f64 v[224:225], v[156:157], s[20:21], -v[226:227]
	v_fma_f64 v[204:205], v[156:157], s[16:17], -v[232:233]
	v_add_f64 v[116:117], v[228:229], v[116:117]
	v_add_f64 v[124:125], v[230:231], v[124:125]
	v_fma_f64 v[228:229], v[156:157], s[4:5], -v[238:239]
	v_fma_f64 v[230:231], v[156:157], s[10:11], -v[240:241]
	v_add_f64 v[122:123], v[54:55], v[52:53]
	v_fma_f64 v[52:53], v[156:157], s[6:7], v[60:61]
	v_add_f64 v[24:25], v[56:57], v[24:25]
	v_add_f64 v[50:51], v[58:59], v[50:51]
	v_fma_f64 v[54:55], v[156:157], s[4:5], v[238:239]
	v_fma_f64 v[56:57], v[156:157], s[10:11], v[240:241]
	v_add_f64 v[14:15], v[110:111], v[14:15]
	v_add_f64 v[18:19], v[118:119], v[18:19]
	;; [unrolled: 1-line block ×3, first 2 shown]
	v_fma_f64 v[60:61], v[156:157], s[20:21], v[226:227]
	v_fma_f64 v[110:111], v[156:157], s[16:17], v[232:233]
	v_add_f64 v[12:13], v[112:113], v[12:13]
	v_add_f64 v[2:3], v[114:115], v[2:3]
	v_fma_f64 v[8:9], v[156:157], s[24:25], v[8:9]
	v_fma_f64 v[112:113], v[156:157], s[34:35], v[194:195]
	;; [unrolled: 1-line block ×3, first 2 shown]
	v_add_f64 v[6:7], v[184:185], v[6:7]
	v_add_f64 v[10:11], v[202:203], v[10:11]
	;; [unrolled: 1-line block ×14, first 2 shown]
	ds_write2_b64 v109, v[6:7], v[10:11] offset0:34 offset1:51
	ds_write2_b64 v109, v[16:17], v[22:23] offset0:68 offset1:85
	ds_write2_b64 v109, v[116:117], v[124:125] offset0:102 offset1:119
	ds_write2_b64 v109, v[122:123], v[4:5] offset0:136 offset1:153
	ds_write2_b64 v109, v[118:119], v[24:25] offset0:170 offset1:187
	ds_write2_b64 v109, v[50:51], v[52:53] offset0:204 offset1:221
	ds_write2_b64 v109, v[54:55], v[58:59] offset0:238 offset1:255
	ds_write_b64 v109, v[56:57] offset:2176
	s_waitcnt lgkmcnt(0)
	s_barrier
	v_add_u32_e32 v110, 0x2000, v69
	v_add_u32_e32 v111, 0x2c00, v69
	ds_read2_b64 v[2:5], v69 offset1:102
	ds_read2_b64 v[10:13], v106 offset0:33 offset1:135
	ds_read2_b64 v[6:9], v107 offset0:66 offset1:168
	;; [unrolled: 1-line block ×5, first 2 shown]
                                        ; implicit-def: $vgpr60_vgpr61
	s_and_saveexec_b64 s[58:59], s[2:3]
	s_cbranch_execz .LBB0_13
; %bb.12:
	ds_read_b64 v[50:51], v69 offset:1632
	ds_read_b64 v[52:53], v69 offset:3944
	;; [unrolled: 1-line block ×6, first 2 shown]
.LBB0_13:
	s_or_b64 exec, exec, s[58:59]
	v_add_f64 v[112:113], v[0:1], v[92:93]
	v_add_f64 v[94:95], v[94:95], -v[96:97]
	v_add_f64 v[96:97], v[82:83], v[98:99]
	v_add_f64 v[92:93], v[92:93], v[80:81]
	v_add_f64 v[90:91], v[90:91], -v[104:105]
	v_add_f64 v[86:87], v[86:87], -v[102:103]
	v_add_f64 v[104:105], v[84:85], v[100:101]
	v_add_f64 v[78:79], v[78:79], -v[88:89]
	v_add_f64 v[82:83], v[112:113], v[82:83]
	v_mul_f64 v[102:103], v[94:95], s[36:37]
	v_mul_f64 v[112:113], v[94:95], s[48:49]
	;; [unrolled: 1-line block ×7, first 2 shown]
	v_add_f64 v[82:83], v[82:83], v[84:85]
	v_mul_f64 v[94:95], v[94:95], s[46:47]
	v_mul_f64 v[84:85], v[90:91], s[48:49]
	;; [unrolled: 1-line block ×5, first 2 shown]
	v_fma_f64 v[146:147], v[92:93], s[24:25], v[102:103]
	v_fma_f64 v[102:103], v[92:93], s[24:25], -v[102:103]
	v_add_f64 v[82:83], v[82:83], v[76:77]
	v_fma_f64 v[148:149], v[92:93], s[20:21], v[112:113]
	v_fma_f64 v[112:113], v[92:93], s[20:21], -v[112:113]
	v_fma_f64 v[150:151], v[92:93], s[4:5], v[114:115]
	v_fma_f64 v[114:115], v[92:93], s[4:5], -v[114:115]
	v_fma_f64 v[152:153], v[92:93], s[6:7], v[116:117]
	v_mul_f64 v[130:131], v[90:91], s[54:55]
	v_mul_f64 v[132:133], v[90:91], s[50:51]
	v_add_f64 v[82:83], v[82:83], v[64:65]
	v_mul_f64 v[134:135], v[90:91], s[18:19]
	v_mul_f64 v[90:91], v[90:91], s[30:31]
	v_mul_f64 v[136:137], v[86:87], s[52:53]
	v_mul_f64 v[138:139], v[86:87], s[28:29]
	v_mul_f64 v[140:141], v[86:87], s[56:57]
	v_mul_f64 v[142:143], v[86:87], s[50:51]
	v_fma_f64 v[116:117], v[92:93], s[6:7], -v[116:117]
	v_add_f64 v[82:83], v[82:83], v[44:45]
	v_fma_f64 v[154:155], v[92:93], s[10:11], v[118:119]
	v_fma_f64 v[118:119], v[92:93], s[10:11], -v[118:119]
	v_fma_f64 v[156:157], v[92:93], s[16:17], v[120:121]
	v_fma_f64 v[120:121], v[92:93], s[16:17], -v[120:121]
	;; [unrolled: 2-line block ×3, first 2 shown]
	v_fma_f64 v[160:161], v[92:93], s[40:41], v[94:95]
	v_add_f64 v[82:83], v[82:83], v[38:39]
	v_fma_f64 v[92:93], v[92:93], s[40:41], -v[94:95]
	v_fma_f64 v[94:95], v[96:97], s[20:21], v[84:85]
	v_fma_f64 v[84:85], v[96:97], s[20:21], -v[84:85]
	v_fma_f64 v[162:163], v[96:97], s[6:7], v[124:125]
	;; [unrolled: 2-line block ×3, first 2 shown]
	v_fma_f64 v[126:127], v[96:97], s[16:17], -v[126:127]
	v_add_f64 v[82:83], v[82:83], v[28:29]
	v_fma_f64 v[166:167], v[96:97], s[40:41], v[128:129]
	v_add_f64 v[146:147], v[0:1], v[146:147]
	v_add_f64 v[102:103], v[0:1], v[102:103]
	v_add_f64 v[148:149], v[0:1], v[148:149]
	v_add_f64 v[112:113], v[0:1], v[112:113]
	v_add_f64 v[150:151], v[0:1], v[150:151]
	v_add_f64 v[114:115], v[0:1], v[114:115]
	v_add_f64 v[82:83], v[82:83], v[30:31]
	v_add_f64 v[152:153], v[0:1], v[152:153]
	v_mul_f64 v[144:145], v[86:87], s[26:27]
	v_fma_f64 v[128:129], v[96:97], s[40:41], -v[128:129]
	v_fma_f64 v[168:169], v[96:97], s[34:35], v[130:131]
	v_fma_f64 v[130:131], v[96:97], s[34:35], -v[130:131]
	v_fma_f64 v[170:171], v[96:97], s[10:11], v[132:133]
	v_fma_f64 v[132:133], v[96:97], s[10:11], -v[132:133]
	v_add_f64 v[82:83], v[82:83], v[40:41]
	v_fma_f64 v[172:173], v[96:97], s[4:5], v[134:135]
	v_fma_f64 v[134:135], v[96:97], s[4:5], -v[134:135]
	v_fma_f64 v[174:175], v[96:97], s[24:25], v[90:91]
	v_fma_f64 v[90:91], v[96:97], s[24:25], -v[90:91]
	v_fma_f64 v[96:97], v[104:105], s[4:5], v[136:137]
	v_fma_f64 v[176:177], v[104:105], s[16:17], v[138:139]
	v_fma_f64 v[138:139], v[104:105], s[16:17], -v[138:139]
	v_add_f64 v[82:83], v[82:83], v[48:49]
	v_fma_f64 v[178:179], v[104:105], s[40:41], v[140:141]
	v_fma_f64 v[140:141], v[104:105], s[40:41], -v[140:141]
	v_fma_f64 v[180:181], v[104:105], s[10:11], v[142:143]
	v_add_f64 v[116:117], v[0:1], v[116:117]
	v_add_f64 v[154:155], v[0:1], v[154:155]
	;; [unrolled: 1-line block ×25, first 2 shown]
	v_mul_f64 v[102:103], v[86:87], s[36:37]
	v_fma_f64 v[112:113], v[104:105], s[20:21], -v[144:145]
	v_fma_f64 v[136:137], v[104:105], s[4:5], -v[136:137]
	v_add_f64 v[82:83], v[82:83], v[98:99]
	v_fma_f64 v[142:143], v[104:105], s[10:11], -v[142:143]
	v_fma_f64 v[182:183], v[104:105], s[20:21], v[144:145]
	v_add_f64 v[126:127], v[170:171], v[156:157]
	v_add_f64 v[120:121], v[132:133], v[120:121]
	;; [unrolled: 1-line block ×3, first 2 shown]
	v_fma_f64 v[88:89], v[104:105], s[24:25], v[102:103]
	v_add_f64 v[112:113], v[112:113], v[118:119]
	v_add_f64 v[80:81], v[82:83], v[80:81]
	;; [unrolled: 1-line block ×4, first 2 shown]
	v_mul_f64 v[124:125], v[86:87], s[42:43]
	v_mul_f64 v[86:87], v[86:87], s[38:39]
	v_fma_f64 v[102:103], v[104:105], s[24:25], -v[102:103]
	v_add_f64 v[26:27], v[76:77], v[26:27]
	v_mul_f64 v[76:77], v[78:79], s[42:43]
	v_add_f64 v[100:101], v[128:129], v[116:117]
	v_add_f64 v[128:129], v[172:173], v[158:159]
	;; [unrolled: 1-line block ×3, first 2 shown]
	v_fma_f64 v[118:119], v[104:105], s[6:7], v[124:125]
	v_fma_f64 v[124:125], v[104:105], s[6:7], -v[124:125]
	v_fma_f64 v[130:131], v[104:105], s[34:35], v[86:87]
	v_fma_f64 v[86:87], v[104:105], s[34:35], -v[86:87]
	v_mul_f64 v[104:105], v[78:79], s[46:47]
	v_add_f64 v[88:89], v[88:89], v[126:127]
	v_add_f64 v[102:103], v[102:103], v[120:121]
	v_mul_f64 v[126:127], v[78:79], s[30:31]
	v_add_f64 v[116:117], v[168:169], v[154:155]
	v_add_f64 v[120:121], v[124:125], v[122:123]
	v_fma_f64 v[122:123], v[26:27], s[6:7], v[76:77]
	v_mul_f64 v[124:125], v[78:79], s[50:51]
	v_add_f64 v[0:1], v[86:87], v[0:1]
	v_fma_f64 v[76:77], v[26:27], s[6:7], -v[76:77]
	v_fma_f64 v[86:87], v[26:27], s[40:41], v[104:105]
	v_add_f64 v[118:119], v[118:119], v[128:129]
	v_fma_f64 v[104:105], v[26:27], s[40:41], -v[104:105]
	v_add_f64 v[100:101], v[142:143], v[100:101]
	v_add_f64 v[90:91], v[122:123], v[90:91]
	v_mul_f64 v[122:123], v[78:79], s[52:53]
	v_fma_f64 v[128:129], v[26:27], s[10:11], v[124:125]
	v_fma_f64 v[124:125], v[26:27], s[10:11], -v[124:125]
	v_add_f64 v[76:77], v[76:77], v[84:85]
	v_add_f64 v[84:85], v[86:87], v[92:93]
	v_fma_f64 v[86:87], v[26:27], s[24:25], v[126:127]
	v_add_f64 v[116:117], v[182:183], v[116:117]
	v_add_f64 v[92:93], v[104:105], v[94:95]
	v_fma_f64 v[94:95], v[26:27], s[24:25], -v[126:127]
	v_fma_f64 v[104:105], v[26:27], s[4:5], v[122:123]
	v_add_f64 v[82:83], v[124:125], v[82:83]
	v_mul_f64 v[124:125], v[78:79], s[38:39]
	v_fma_f64 v[122:123], v[26:27], s[4:5], -v[122:123]
	v_add_f64 v[86:87], v[86:87], v[114:115]
	v_mul_f64 v[114:115], v[78:79], s[44:45]
	v_add_f64 v[66:67], v[66:67], -v[74:75]
	v_mul_f64 v[74:75], v[78:79], s[26:27]
	v_add_f64 v[94:95], v[94:95], v[100:101]
	v_add_f64 v[100:101], v[104:105], v[116:117]
	v_fma_f64 v[78:79], v[26:27], s[34:35], v[124:125]
	v_add_f64 v[104:105], v[122:123], v[112:113]
	v_fma_f64 v[112:113], v[26:27], s[34:35], -v[124:125]
	v_fma_f64 v[116:117], v[26:27], s[16:17], v[114:115]
	v_fma_f64 v[114:115], v[26:27], s[16:17], -v[114:115]
	v_add_f64 v[64:65], v[64:65], v[72:73]
	v_mul_f64 v[72:73], v[66:67], s[22:23]
	v_fma_f64 v[122:123], v[26:27], s[20:21], v[74:75]
	v_fma_f64 v[26:27], v[26:27], s[20:21], -v[74:75]
	v_add_f64 v[78:79], v[78:79], v[88:89]
	v_add_f64 v[74:75], v[112:113], v[102:103]
	v_mul_f64 v[88:89], v[66:67], s[54:55]
	v_add_f64 v[102:103], v[116:117], v[118:119]
	v_add_f64 v[112:113], v[114:115], v[120:121]
	v_fma_f64 v[114:115], v[64:65], s[10:11], v[72:73]
	v_mul_f64 v[116:117], v[66:67], s[26:27]
	v_add_f64 v[0:1], v[26:27], v[0:1]
	v_fma_f64 v[26:27], v[64:65], s[10:11], -v[72:73]
	v_mul_f64 v[118:119], v[66:67], s[52:53]
	v_fma_f64 v[72:73], v[64:65], s[34:35], v[88:89]
	v_fma_f64 v[88:89], v[64:65], s[34:35], -v[88:89]
	v_add_f64 v[46:47], v[46:47], -v[62:63]
	v_add_f64 v[90:91], v[114:115], v[90:91]
	v_mul_f64 v[114:115], v[66:67], s[46:47]
	v_fma_f64 v[120:121], v[64:65], s[20:21], v[116:117]
	v_fma_f64 v[116:117], v[64:65], s[20:21], -v[116:117]
	v_add_f64 v[26:27], v[26:27], v[76:77]
	v_fma_f64 v[76:77], v[64:65], s[4:5], v[118:119]
	v_add_f64 v[72:73], v[72:73], v[84:85]
	v_add_f64 v[84:85], v[88:89], v[92:93]
	v_fma_f64 v[88:89], v[64:65], s[4:5], -v[118:119]
	v_fma_f64 v[92:93], v[64:65], s[40:41], v[114:115]
	v_fma_f64 v[114:115], v[64:65], s[40:41], -v[114:115]
	v_add_f64 v[82:83], v[116:117], v[82:83]
	v_mul_f64 v[116:117], v[66:67], s[14:15]
	v_add_f64 v[76:77], v[76:77], v[86:87]
	v_mul_f64 v[86:87], v[66:67], s[36:37]
	v_mul_f64 v[62:63], v[66:67], s[28:29]
	v_add_f64 v[88:89], v[88:89], v[94:95]
	v_add_f64 v[92:93], v[92:93], v[100:101]
	v_add_f64 v[94:95], v[114:115], v[104:105]
	v_add_f64 v[44:45], v[44:45], v[48:49]
	v_fma_f64 v[66:67], v[64:65], s[6:7], v[116:117]
	v_fma_f64 v[100:101], v[64:65], s[6:7], -v[116:117]
	v_fma_f64 v[104:105], v[64:65], s[24:25], v[86:87]
	v_mul_f64 v[48:49], v[46:47], s[28:29]
	v_fma_f64 v[114:115], v[64:65], s[16:17], v[62:63]
	v_fma_f64 v[62:63], v[64:65], s[16:17], -v[62:63]
	v_fma_f64 v[86:87], v[64:65], s[24:25], -v[86:87]
	v_add_f64 v[98:99], v[174:175], v[160:161]
	v_add_f64 v[66:67], v[66:67], v[78:79]
	;; [unrolled: 1-line block ×4, first 2 shown]
	v_mul_f64 v[78:79], v[46:47], s[50:51]
	v_fma_f64 v[100:101], v[44:45], s[16:17], v[48:49]
	v_mul_f64 v[102:103], v[46:47], s[36:37]
	v_add_f64 v[0:1], v[62:63], v[0:1]
	v_fma_f64 v[48:49], v[44:45], s[16:17], -v[48:49]
	v_mul_f64 v[62:63], v[46:47], s[38:39]
	v_add_f64 v[86:87], v[86:87], v[112:113]
	v_add_f64 v[98:99], v[130:131], v[98:99]
	v_fma_f64 v[104:105], v[44:45], s[10:11], v[78:79]
	v_fma_f64 v[78:79], v[44:45], s[10:11], -v[78:79]
	v_add_f64 v[90:91], v[100:101], v[90:91]
	v_mul_f64 v[100:101], v[46:47], s[14:15]
	v_fma_f64 v[112:113], v[44:45], s[24:25], v[102:103]
	v_fma_f64 v[102:103], v[44:45], s[24:25], -v[102:103]
	v_add_f64 v[26:27], v[48:49], v[26:27]
	v_fma_f64 v[48:49], v[44:45], s[34:35], v[62:63]
	v_add_f64 v[36:37], v[36:37], -v[42:43]
	v_add_f64 v[78:79], v[78:79], v[84:85]
	v_add_f64 v[96:97], v[128:129], v[96:97]
	v_fma_f64 v[84:85], v[44:45], s[6:7], v[100:101]
	v_add_f64 v[98:99], v[122:123], v[98:99]
	v_add_f64 v[82:83], v[102:103], v[82:83]
	v_mul_f64 v[102:103], v[46:47], s[48:49]
	v_add_f64 v[48:49], v[48:49], v[76:77]
	v_fma_f64 v[76:77], v[44:45], s[6:7], -v[100:101]
	v_mul_f64 v[100:101], v[46:47], s[46:47]
	v_fma_f64 v[62:63], v[44:45], s[34:35], -v[62:63]
	v_add_f64 v[84:85], v[84:85], v[92:93]
	v_mul_f64 v[42:43], v[46:47], s[18:19]
	v_add_f64 v[38:39], v[38:39], v[40:41]
	v_fma_f64 v[46:47], v[44:45], s[20:21], v[102:103]
	v_mul_f64 v[40:41], v[36:37], s[38:39]
	v_add_f64 v[76:77], v[76:77], v[94:95]
	v_fma_f64 v[92:93], v[44:45], s[40:41], v[100:101]
	v_fma_f64 v[94:95], v[44:45], s[40:41], -v[100:101]
	v_add_f64 v[96:97], v[120:121], v[96:97]
	v_add_f64 v[98:99], v[114:115], v[98:99]
	;; [unrolled: 1-line block ×3, first 2 shown]
	v_fma_f64 v[88:89], v[44:45], s[20:21], -v[102:103]
	v_fma_f64 v[100:101], v[44:45], s[4:5], v[42:43]
	v_add_f64 v[46:47], v[46:47], v[66:67]
	v_fma_f64 v[42:43], v[44:45], s[4:5], -v[42:43]
	v_add_f64 v[44:45], v[92:93], v[74:75]
	v_mul_f64 v[66:67], v[36:37], s[18:19]
	v_mul_f64 v[92:93], v[36:37], s[42:43]
	v_add_f64 v[74:75], v[94:95], v[86:87]
	v_fma_f64 v[86:87], v[38:39], s[34:35], v[40:41]
	v_fma_f64 v[40:41], v[38:39], s[34:35], -v[40:41]
	v_add_f64 v[72:73], v[104:105], v[72:73]
	v_add_f64 v[96:97], v[112:113], v[96:97]
	;; [unrolled: 1-line block ×5, first 2 shown]
	v_mul_f64 v[42:43], v[36:37], s[44:45]
	v_fma_f64 v[94:95], v[38:39], s[4:5], v[66:67]
	v_fma_f64 v[98:99], v[38:39], s[6:7], v[92:93]
	v_fma_f64 v[66:67], v[38:39], s[4:5], -v[66:67]
	v_add_f64 v[86:87], v[86:87], v[90:91]
	v_mul_f64 v[90:91], v[36:37], s[36:37]
	v_add_f64 v[26:27], v[40:41], v[26:27]
	v_fma_f64 v[40:41], v[38:39], s[6:7], -v[92:93]
	v_fma_f64 v[92:93], v[38:39], s[16:17], v[42:43]
	v_add_f64 v[72:73], v[94:95], v[72:73]
	v_fma_f64 v[42:43], v[38:39], s[16:17], -v[42:43]
	v_add_f64 v[94:95], v[98:99], v[96:97]
	v_mul_f64 v[96:97], v[36:37], s[46:47]
	v_add_f64 v[66:67], v[66:67], v[78:79]
	v_fma_f64 v[78:79], v[38:39], s[24:25], v[90:91]
	v_add_f64 v[40:41], v[40:41], v[82:83]
	v_fma_f64 v[82:83], v[38:39], s[24:25], -v[90:91]
	v_mul_f64 v[90:91], v[36:37], s[26:27]
	v_add_f64 v[32:33], v[32:33], -v[34:35]
	v_add_f64 v[42:43], v[42:43], v[62:63]
	v_fma_f64 v[34:35], v[38:39], s[40:41], v[96:97]
	v_fma_f64 v[62:63], v[38:39], s[40:41], -v[96:97]
	v_mul_f64 v[36:37], v[36:37], s[22:23]
	v_add_f64 v[28:29], v[28:29], v[30:31]
	v_add_f64 v[76:77], v[82:83], v[76:77]
	v_fma_f64 v[82:83], v[38:39], s[20:21], v[90:91]
	v_mul_f64 v[30:31], v[32:33], s[46:47]
	v_add_f64 v[78:79], v[78:79], v[84:85]
	v_fma_f64 v[84:85], v[38:39], s[20:21], -v[90:91]
	v_add_f64 v[34:35], v[34:35], v[46:47]
	v_add_f64 v[46:47], v[62:63], v[64:65]
	v_fma_f64 v[62:63], v[38:39], s[10:11], v[36:37]
	v_mul_f64 v[64:65], v[32:33], s[30:31]
	v_add_f64 v[44:45], v[82:83], v[44:45]
	v_fma_f64 v[36:37], v[38:39], s[10:11], -v[36:37]
	v_fma_f64 v[38:39], v[28:29], s[40:41], v[30:31]
	v_mul_f64 v[82:83], v[32:33], s[38:39]
	v_fma_f64 v[30:31], v[28:29], s[40:41], -v[30:31]
	v_add_f64 v[74:75], v[84:85], v[74:75]
	v_add_f64 v[84:85], v[62:63], v[88:89]
	v_fma_f64 v[62:63], v[28:29], s[24:25], v[64:65]
	v_mul_f64 v[88:89], v[32:33], s[26:27]
	v_fma_f64 v[64:65], v[28:29], s[24:25], -v[64:65]
	v_add_f64 v[36:37], v[36:37], v[0:1]
	v_add_f64 v[48:49], v[92:93], v[48:49]
	;; [unrolled: 1-line block ×3, first 2 shown]
	v_fma_f64 v[26:27], v[28:29], s[34:35], -v[82:83]
	v_add_f64 v[38:39], v[38:39], v[86:87]
	v_fma_f64 v[86:87], v[28:29], s[34:35], v[82:83]
	v_add_f64 v[30:31], v[62:63], v[72:73]
	v_fma_f64 v[72:73], v[28:29], s[20:21], v[88:89]
	v_add_f64 v[62:63], v[64:65], v[66:67]
	v_fma_f64 v[64:65], v[28:29], s[20:21], -v[88:89]
	v_mul_f64 v[82:83], v[32:33], s[28:29]
	v_mul_f64 v[88:89], v[32:33], s[18:19]
	v_add_f64 v[66:67], v[26:27], v[40:41]
	v_mul_f64 v[26:27], v[32:33], s[22:23]
	v_mul_f64 v[32:33], v[32:33], s[14:15]
	v_add_f64 v[40:41], v[72:73], v[48:49]
	v_add_f64 v[86:87], v[86:87], v[94:95]
	;; [unrolled: 1-line block ×3, first 2 shown]
	v_fma_f64 v[42:43], v[28:29], s[16:17], v[82:83]
	v_fma_f64 v[48:49], v[28:29], s[16:17], -v[82:83]
	v_fma_f64 v[82:83], v[28:29], s[4:5], v[88:89]
	v_fma_f64 v[90:91], v[28:29], s[10:11], v[26:27]
	v_fma_f64 v[88:89], v[28:29], s[4:5], -v[88:89]
	v_fma_f64 v[26:27], v[28:29], s[10:11], -v[26:27]
	v_fma_f64 v[92:93], v[28:29], s[6:7], v[32:33]
	v_fma_f64 v[28:29], v[28:29], s[6:7], -v[32:33]
	v_add_f64 v[32:33], v[42:43], v[78:79]
	v_add_f64 v[64:65], v[48:49], v[76:77]
	;; [unrolled: 1-line block ×8, first 2 shown]
	s_waitcnt lgkmcnt(0)
	s_barrier
	ds_write2_b64 v109, v[80:81], v[38:39] offset1:17
	ds_write2_b64 v109, v[30:31], v[86:87] offset0:34 offset1:51
	ds_write2_b64 v109, v[40:41], v[32:33] offset0:68 offset1:85
	;; [unrolled: 1-line block ×7, first 2 shown]
	ds_write_b64 v109, v[0:1] offset:2176
	s_waitcnt lgkmcnt(0)
	s_barrier
	ds_read2_b64 v[26:29], v69 offset1:102
	ds_read2_b64 v[34:37], v106 offset0:33 offset1:135
	ds_read2_b64 v[30:33], v107 offset0:66 offset1:168
	;; [unrolled: 1-line block ×5, first 2 shown]
                                        ; implicit-def: $vgpr74_vgpr75
	s_and_saveexec_b64 s[4:5], s[2:3]
	s_cbranch_execz .LBB0_15
; %bb.14:
	ds_read_b64 v[64:65], v69 offset:1632
	ds_read_b64 v[72:73], v69 offset:3944
	;; [unrolled: 1-line block ×6, first 2 shown]
.LBB0_15:
	s_or_b64 exec, exec, s[4:5]
	s_and_saveexec_b64 s[4:5], s[0:1]
	s_cbranch_execz .LBB0_18
; %bb.16:
	v_add_u32_e32 v69, 0x66, v68
	v_mul_u32_u24_e32 v69, 5, v69
	v_mul_u32_u24_e32 v77, 5, v68
	v_lshlrev_b32_e32 v69, 4, v69
	v_lshlrev_b32_e32 v77, 4, v77
	v_mov_b32_e32 v76, s9
	v_add_co_u32_e32 v69, vcc, s8, v69
	v_add_co_u32_e64 v77, s[0:1], s8, v77
	v_addc_co_u32_e32 v104, vcc, 0, v76, vcc
	s_movk_i32 s4, 0x1100
	v_addc_co_u32_e64 v76, s[0:1], 0, v76, s[0:1]
	v_add_co_u32_e32 v100, vcc, 0x1100, v69
	v_add_co_u32_e64 v116, s[0:1], s4, v77
	s_movk_i32 s6, 0x1000
	v_addc_co_u32_e64 v117, s[0:1], 0, v76, s[0:1]
	v_addc_co_u32_e32 v101, vcc, 0, v104, vcc
	v_add_co_u32_e64 v92, s[0:1], s6, v77
	v_add_co_u32_e32 v118, vcc, 0x1000, v69
	v_addc_co_u32_e64 v93, s[0:1], 0, v76, s[0:1]
	global_load_dwordx4 v[76:79], v[116:117], off offset:48
	global_load_dwordx4 v[80:83], v[116:117], off offset:32
	;; [unrolled: 1-line block ×4, first 2 shown]
	v_addc_co_u32_e32 v119, vcc, 0, v104, vcc
	global_load_dwordx4 v[92:95], v[100:101], off offset:32
	global_load_dwordx4 v[96:99], v[100:101], off offset:16
	s_mov_b32 s4, 0xe8584caa
	global_load_dwordx4 v[100:103], v[100:101], off offset:48
	s_nop 0
	global_load_dwordx4 v[104:107], v[118:119], off offset:256
	global_load_dwordx4 v[108:111], v[118:119], off offset:320
	;; [unrolled: 1-line block ×3, first 2 shown]
	s_mov_b32 s5, 0x3febb67a
	s_mov_b32 s1, 0xbfebb67a
	;; [unrolled: 1-line block ×3, first 2 shown]
	v_mov_b32_e32 v69, 0
	s_movk_i32 s7, 0x2000
	s_waitcnt vmcnt(9) lgkmcnt(1)
	v_mul_f64 v[116:117], v[42:43], v[78:79]
	v_mul_f64 v[78:79], v[18:19], v[78:79]
	s_waitcnt vmcnt(7)
	v_mul_f64 v[118:119], v[34:35], v[86:87]
	s_waitcnt vmcnt(6) lgkmcnt(0)
	v_mul_f64 v[122:123], v[38:39], v[90:91]
	v_mul_f64 v[120:121], v[46:47], v[82:83]
	s_waitcnt vmcnt(5)
	v_mul_f64 v[126:127], v[48:49], v[94:95]
	v_mul_f64 v[94:95], v[24:25], v[94:95]
	;; [unrolled: 1-line block ×3, first 2 shown]
	s_waitcnt vmcnt(1)
	v_mul_f64 v[132:133], v[40:41], v[110:111]
	v_mul_f64 v[110:111], v[16:17], v[110:111]
	;; [unrolled: 1-line block ×7, first 2 shown]
	v_fma_f64 v[116:117], v[18:19], v[76:77], -v[116:117]
	v_fma_f64 v[42:43], v[42:43], v[76:77], v[78:79]
	v_fma_f64 v[76:77], v[10:11], v[84:85], -v[118:119]
	v_fma_f64 v[118:119], v[14:15], v[88:89], -v[122:123]
	;; [unrolled: 1-line block ×3, first 2 shown]
	v_fma_f64 v[18:19], v[48:49], v[92:93], v[94:95]
	v_fma_f64 v[16:17], v[16:17], v[108:109], -v[132:133]
	v_fma_f64 v[24:25], v[40:41], v[108:109], v[110:111]
	v_mul_f64 v[86:87], v[10:11], v[86:87]
	v_mul_f64 v[128:129], v[44:45], v[102:103]
	;; [unrolled: 1-line block ×3, first 2 shown]
	v_fma_f64 v[78:79], v[22:23], v[80:81], -v[120:121]
	v_fma_f64 v[46:47], v[46:47], v[80:81], v[82:83]
	v_fma_f64 v[38:39], v[38:39], v[88:89], v[90:91]
	v_fma_f64 v[8:9], v[8:9], v[96:97], -v[124:125]
	v_fma_f64 v[10:11], v[32:33], v[96:97], v[98:99]
	v_fma_f64 v[12:13], v[12:13], v[104:105], -v[130:131]
	v_fma_f64 v[32:33], v[36:37], v[104:105], v[106:107]
	v_add_f64 v[88:89], v[14:15], v[16:17]
	v_add_f64 v[92:93], v[18:19], v[24:25]
	s_waitcnt vmcnt(0)
	v_mul_f64 v[134:135], v[30:31], v[114:115]
	v_mul_f64 v[114:115], v[6:7], v[114:115]
	v_fma_f64 v[34:35], v[34:35], v[84:85], v[86:87]
	v_fma_f64 v[20:21], v[20:21], v[100:101], -v[128:129]
	v_fma_f64 v[22:23], v[44:45], v[100:101], v[102:103]
	v_add_f64 v[36:37], v[78:79], v[118:119]
	v_add_f64 v[48:49], v[46:47], v[38:39]
	;; [unrolled: 1-line block ×4, first 2 shown]
	v_add_f64 v[90:91], v[18:19], -v[24:25]
	v_add_f64 v[94:95], v[14:15], -v[16:17]
	v_add_f64 v[18:19], v[32:33], v[18:19]
	v_add_f64 v[14:15], v[12:13], v[14:15]
	v_fma_f64 v[32:33], v[92:93], -0.5, v[32:33]
	v_fma_f64 v[12:13], v[88:89], -0.5, v[12:13]
	v_fma_f64 v[30:31], v[30:31], v[112:113], v[114:115]
	v_add_f64 v[40:41], v[46:47], -v[38:39]
	v_add_f64 v[44:45], v[78:79], -v[118:119]
	;; [unrolled: 1-line block ×3, first 2 shown]
	v_add_f64 v[86:87], v[10:11], v[22:23]
	v_add_f64 v[8:9], v[8:9], v[20:21]
	v_add_f64 v[10:11], v[10:11], -v[22:23]
	v_fma_f64 v[36:37], v[36:37], -0.5, v[76:77]
	v_fma_f64 v[48:49], v[48:49], -0.5, v[34:35]
	v_add_f64 v[22:23], v[80:81], v[22:23]
	v_add_f64 v[80:81], v[82:83], v[20:21]
	v_add_f64 v[82:83], v[18:19], v[24:25]
	v_fma_f64 v[18:19], v[94:95], s[4:5], v[32:33]
	v_fma_f64 v[24:25], v[90:91], s[4:5], v[12:13]
	;; [unrolled: 1-line block ×3, first 2 shown]
	v_fma_f64 v[6:7], v[6:7], v[112:113], -v[134:135]
	v_add_f64 v[98:99], v[30:31], v[42:43]
	v_fma_f64 v[20:21], v[86:87], -0.5, v[28:29]
	v_fma_f64 v[28:29], v[94:95], s[0:1], v[32:33]
	v_fma_f64 v[4:5], v[8:9], -0.5, v[4:5]
	v_add_f64 v[8:9], v[14:15], v[16:17]
	v_fma_f64 v[88:89], v[40:41], s[0:1], v[36:37]
	v_mul_f64 v[14:15], v[18:19], -0.5
	v_mul_f64 v[32:33], v[12:13], -0.5
	v_fma_f64 v[102:103], v[44:45], s[4:5], v[48:49]
	v_fma_f64 v[36:37], v[40:41], s[4:5], v[36:37]
	v_fma_f64 v[86:87], v[98:99], -0.5, v[26:27]
	v_mul_f64 v[16:17], v[24:25], s[0:1]
	v_mul_f64 v[90:91], v[28:29], s[4:5]
	v_fma_f64 v[92:93], v[84:85], s[4:5], v[20:21]
	v_fma_f64 v[98:99], v[12:13], s[0:1], v[14:15]
	;; [unrolled: 1-line block ×3, first 2 shown]
	v_add_f64 v[12:13], v[22:23], -v[82:83]
	v_mul_f64 v[40:41], v[102:103], -0.5
	v_add_f64 v[32:33], v[22:23], v[82:83]
	v_add_f64 v[82:83], v[6:7], v[116:117]
	v_fma_f64 v[44:45], v[44:45], s[0:1], v[48:49]
	v_mul_f64 v[48:49], v[36:37], s[0:1]
	v_add_f64 v[96:97], v[6:7], -v[116:117]
	v_fma_f64 v[84:85], v[84:85], s[0:1], v[20:21]
	v_fma_f64 v[94:95], v[10:11], s[0:1], v[4:5]
	v_fma_f64 v[28:29], v[28:29], 0.5, v[16:17]
	v_fma_f64 v[90:91], v[24:25], 0.5, v[90:91]
	v_add_f64 v[16:17], v[92:93], -v[98:99]
	v_add_f64 v[24:25], v[92:93], v[98:99]
	v_fma_f64 v[92:93], v[88:89], s[0:1], v[40:41]
	v_add_f64 v[26:27], v[26:27], v[30:31]
	v_add_f64 v[34:35], v[34:35], v[46:47]
	v_fma_f64 v[40:41], v[82:83], -0.5, v[2:3]
	v_add_f64 v[30:31], v[30:31], -v[42:43]
	v_mul_f64 v[46:47], v[88:89], -0.5
	v_fma_f64 v[48:49], v[44:45], 0.5, v[48:49]
	v_mul_f64 v[44:45], v[44:45], s[4:5]
	v_add_f64 v[2:3], v[2:3], v[6:7]
	v_add_f64 v[6:7], v[76:77], v[78:79]
	v_add_f64 v[20:21], v[84:85], -v[28:29]
	v_add_f64 v[14:15], v[94:95], -v[100:101]
	v_add_f64 v[28:29], v[84:85], v[28:29]
	v_add_f64 v[22:23], v[94:95], v[100:101]
	v_fma_f64 v[84:85], v[96:97], s[4:5], v[86:87]
	v_fma_f64 v[86:87], v[96:97], s[0:1], v[86:87]
	;; [unrolled: 1-line block ×5, first 2 shown]
	v_fma_f64 v[94:95], v[36:37], 0.5, v[44:45]
	v_fma_f64 v[4:5], v[10:11], s[4:5], v[4:5]
	v_add_f64 v[76:77], v[26:27], v[42:43]
	v_add_f64 v[78:79], v[34:35], v[38:39]
	;; [unrolled: 1-line block ×4, first 2 shown]
	v_add_f64 v[40:41], v[86:87], -v[48:49]
	v_add_f64 v[34:35], v[82:83], -v[46:47]
	v_add_f64 v[48:49], v[86:87], v[48:49]
	v_add_f64 v[6:7], v[82:83], v[46:47]
	;; [unrolled: 1-line block ×3, first 2 shown]
	v_add_f64 v[18:19], v[4:5], -v[90:91]
	v_add_f64 v[26:27], v[4:5], v[90:91]
	v_add_f64 v[44:45], v[76:77], -v[78:79]
	v_add_f64 v[42:43], v[2:3], -v[96:97]
	v_add_f64 v[78:79], v[76:77], v[78:79]
	v_add_f64 v[76:77], v[2:3], v[96:97]
	v_mov_b32_e32 v2, s13
	v_add_co_u32_e32 v4, vcc, s12, v70
	v_add_f64 v[10:11], v[80:81], -v[8:9]
	v_add_f64 v[30:31], v[80:81], v[8:9]
	v_add_f64 v[8:9], v[84:85], v[92:93]
	v_addc_co_u32_e32 v5, vcc, v2, v71, vcc
	v_lshlrev_b64 v[2:3], 4, v[68:69]
	v_add_f64 v[38:39], v[88:89], -v[94:95]
	v_add_co_u32_e32 v2, vcc, v4, v2
	v_addc_co_u32_e32 v3, vcc, v5, v3, vcc
	v_add_co_u32_e32 v4, vcc, s6, v2
	v_addc_co_u32_e32 v5, vcc, 0, v3, vcc
	v_add_f64 v[36:37], v[84:85], -v[92:93]
	global_store_dwordx4 v[4:5], v[46:49], off offset:528
	global_store_dwordx4 v[2:3], v[76:79], off
	v_add_co_u32_e32 v46, vcc, s7, v2
	v_addc_co_u32_e32 v47, vcc, 0, v3, vcc
	s_movk_i32 s7, 0x3000
	global_store_dwordx4 v[46:47], v[6:9], off offset:1056
	s_nop 0
	v_add_co_u32_e32 v6, vcc, s7, v2
	v_addc_co_u32_e32 v7, vcc, 0, v3, vcc
	s_movk_i32 s7, 0x4000
	v_add_co_u32_e32 v8, vcc, s7, v2
	v_addc_co_u32_e32 v9, vcc, 0, v3, vcc
	s_movk_i32 s7, 0x5000
	global_store_dwordx4 v[8:9], v[38:41], off offset:2112
	global_store_dwordx4 v[6:7], v[42:45], off offset:1584
	v_add_co_u32_e32 v38, vcc, s7, v2
	v_addc_co_u32_e32 v39, vcc, 0, v3, vcc
	global_store_dwordx4 v[38:39], v[34:37], off offset:2640
	global_store_dwordx4 v[2:3], v[30:33], off offset:1632
	;; [unrolled: 1-line block ×6, first 2 shown]
	v_add_co_u32_e32 v10, vcc, 0x6000, v2
	v_addc_co_u32_e32 v11, vcc, 0, v3, vcc
	global_store_dwordx4 v[10:11], v[14:17], off offset:176
	s_and_b64 exec, exec, s[2:3]
	s_cbranch_execz .LBB0_18
; %bb.17:
	v_mov_b32_e32 v10, 0xffffffab
	v_mov_b32_e32 v11, 0xcc
	v_cndmask_b32_e64 v10, v10, v11, s[2:3]
	v_add_u32_e32 v10, v68, v10
	v_mul_i32_i24_e32 v68, 5, v10
	v_lshlrev_b64 v[10:11], 4, v[68:69]
	v_mov_b32_e32 v12, s9
	v_add_co_u32_e32 v10, vcc, s8, v10
	v_addc_co_u32_e32 v18, vcc, v12, v11, vcc
	v_add_co_u32_e32 v30, vcc, 0x1100, v10
	v_addc_co_u32_e32 v31, vcc, 0, v18, vcc
	v_add_co_u32_e32 v32, vcc, s6, v10
	global_load_dwordx4 v[10:13], v[30:31], off offset:32
	global_load_dwordx4 v[14:17], v[30:31], off offset:16
	v_addc_co_u32_e32 v33, vcc, 0, v18, vcc
	global_load_dwordx4 v[18:21], v[32:33], off offset:320
	global_load_dwordx4 v[22:25], v[32:33], off offset:256
	;; [unrolled: 1-line block ×3, first 2 shown]
	v_add_co_u32_e32 v34, vcc, 0x5000, v2
	v_addc_co_u32_e32 v35, vcc, 0, v3, vcc
	v_add_co_u32_e32 v36, vcc, 0x6000, v2
	s_waitcnt vmcnt(4)
	v_mul_f64 v[32:33], v[62:63], v[12:13]
	v_mul_f64 v[12:13], v[58:59], v[12:13]
	s_waitcnt vmcnt(2)
	v_mul_f64 v[37:38], v[60:61], v[20:21]
	v_mul_f64 v[20:21], v[74:75], v[20:21]
	;; [unrolled: 1-line block ×4, first 2 shown]
	s_waitcnt vmcnt(1)
	v_mul_f64 v[39:40], v[72:73], v[24:25]
	v_mul_f64 v[24:25], v[52:53], v[24:25]
	s_waitcnt vmcnt(0)
	v_mul_f64 v[41:42], v[0:1], v[28:29]
	v_mul_f64 v[28:29], v[56:57], v[28:29]
	v_fma_f64 v[32:33], v[58:59], v[10:11], -v[32:33]
	v_fma_f64 v[10:11], v[62:63], v[10:11], v[12:13]
	v_fma_f64 v[12:13], v[74:75], v[18:19], v[37:38]
	v_fma_f64 v[18:19], v[60:61], v[18:19], -v[20:21]
	v_fma_f64 v[20:21], v[54:55], v[14:15], -v[30:31]
	v_fma_f64 v[14:15], v[66:67], v[14:15], v[16:17]
	v_fma_f64 v[16:17], v[56:57], v[26:27], -v[41:42]
	v_fma_f64 v[0:1], v[0:1], v[26:27], v[28:29]
	;; [unrolled: 2-line block ×3, first 2 shown]
	v_add_f64 v[24:25], v[10:11], v[12:13]
	v_add_f64 v[28:29], v[32:33], v[18:19]
	;; [unrolled: 1-line block ×3, first 2 shown]
	v_add_f64 v[43:44], v[10:11], -v[12:13]
	v_add_f64 v[45:46], v[32:33], -v[18:19]
	v_add_f64 v[37:38], v[64:65], v[14:15]
	v_add_f64 v[39:40], v[20:21], v[16:17]
	v_add_f64 v[41:42], v[14:15], -v[0:1]
	v_fma_f64 v[24:25], v[24:25], -0.5, v[22:23]
	v_fma_f64 v[28:29], v[28:29], -0.5, v[26:27]
	v_add_f64 v[14:15], v[14:15], v[0:1]
	v_add_f64 v[20:21], v[20:21], -v[16:17]
	v_add_f64 v[26:27], v[26:27], v[32:33]
	v_add_f64 v[10:11], v[22:23], v[10:11]
	;; [unrolled: 1-line block ×4, first 2 shown]
	v_fma_f64 v[22:23], v[45:46], s[0:1], v[24:25]
	v_fma_f64 v[30:31], v[43:44], s[0:1], v[28:29]
	v_fma_f64 v[28:29], v[43:44], s[4:5], v[28:29]
	v_fma_f64 v[24:25], v[45:46], s[4:5], v[24:25]
	v_fma_f64 v[32:33], v[39:40], -0.5, v[50:51]
	v_fma_f64 v[14:15], v[14:15], -0.5, v[64:65]
	v_add_f64 v[18:19], v[26:27], v[18:19]
	v_add_f64 v[26:27], v[10:11], v[12:13]
	v_mul_f64 v[10:11], v[22:23], s[4:5]
	v_mul_f64 v[12:13], v[30:31], -0.5
	v_mul_f64 v[37:38], v[28:29], s[0:1]
	v_mul_f64 v[39:40], v[24:25], -0.5
	v_fma_f64 v[43:44], v[41:42], s[4:5], v[32:33]
	v_fma_f64 v[32:33], v[41:42], s[0:1], v[32:33]
	;; [unrolled: 1-line block ×4, first 2 shown]
	v_fma_f64 v[28:29], v[28:29], 0.5, v[10:11]
	v_fma_f64 v[47:48], v[24:25], s[4:5], v[12:13]
	v_fma_f64 v[37:38], v[22:23], 0.5, v[37:38]
	v_fma_f64 v[39:40], v[30:31], s[0:1], v[39:40]
	v_add_f64 v[10:11], v[16:17], v[18:19]
	v_add_f64 v[12:13], v[0:1], v[26:27]
	v_add_f64 v[14:15], v[16:17], -v[18:19]
	v_add_f64 v[16:17], v[0:1], -v[26:27]
	v_add_f64 v[18:19], v[43:44], v[28:29]
	v_add_f64 v[22:23], v[32:33], v[47:48]
	v_add_f64 v[20:21], v[41:42], v[37:38]
	v_add_f64 v[24:25], v[45:46], v[39:40]
	v_add_f64 v[26:27], v[43:44], -v[28:29]
	v_add_f64 v[28:29], v[41:42], -v[37:38]
	;; [unrolled: 1-line block ×4, first 2 shown]
	v_addc_co_u32_e32 v37, vcc, 0, v3, vcc
	global_store_dwordx4 v[2:3], v[10:13], off offset:3264
	global_store_dwordx4 v[8:9], v[14:17], off offset:752
	;; [unrolled: 1-line block ×6, first 2 shown]
.LBB0_18:
	s_endpgm
	.section	.rodata,"a",@progbits
	.p2align	6, 0x0
	.amdhsa_kernel fft_rtc_fwd_len1734_factors_17_17_6_wgs_102_tpt_102_halfLds_dp_ip_CI_unitstride_sbrr_dirReg
		.amdhsa_group_segment_fixed_size 0
		.amdhsa_private_segment_fixed_size 0
		.amdhsa_kernarg_size 88
		.amdhsa_user_sgpr_count 6
		.amdhsa_user_sgpr_private_segment_buffer 1
		.amdhsa_user_sgpr_dispatch_ptr 0
		.amdhsa_user_sgpr_queue_ptr 0
		.amdhsa_user_sgpr_kernarg_segment_ptr 1
		.amdhsa_user_sgpr_dispatch_id 0
		.amdhsa_user_sgpr_flat_scratch_init 0
		.amdhsa_user_sgpr_private_segment_size 0
		.amdhsa_uses_dynamic_stack 0
		.amdhsa_system_sgpr_private_segment_wavefront_offset 0
		.amdhsa_system_sgpr_workgroup_id_x 1
		.amdhsa_system_sgpr_workgroup_id_y 0
		.amdhsa_system_sgpr_workgroup_id_z 0
		.amdhsa_system_sgpr_workgroup_info 0
		.amdhsa_system_vgpr_workitem_id 0
		.amdhsa_next_free_vgpr 242
		.amdhsa_next_free_sgpr 60
		.amdhsa_reserve_vcc 1
		.amdhsa_reserve_flat_scratch 0
		.amdhsa_float_round_mode_32 0
		.amdhsa_float_round_mode_16_64 0
		.amdhsa_float_denorm_mode_32 3
		.amdhsa_float_denorm_mode_16_64 3
		.amdhsa_dx10_clamp 1
		.amdhsa_ieee_mode 1
		.amdhsa_fp16_overflow 0
		.amdhsa_exception_fp_ieee_invalid_op 0
		.amdhsa_exception_fp_denorm_src 0
		.amdhsa_exception_fp_ieee_div_zero 0
		.amdhsa_exception_fp_ieee_overflow 0
		.amdhsa_exception_fp_ieee_underflow 0
		.amdhsa_exception_fp_ieee_inexact 0
		.amdhsa_exception_int_div_zero 0
	.end_amdhsa_kernel
	.text
.Lfunc_end0:
	.size	fft_rtc_fwd_len1734_factors_17_17_6_wgs_102_tpt_102_halfLds_dp_ip_CI_unitstride_sbrr_dirReg, .Lfunc_end0-fft_rtc_fwd_len1734_factors_17_17_6_wgs_102_tpt_102_halfLds_dp_ip_CI_unitstride_sbrr_dirReg
                                        ; -- End function
	.section	.AMDGPU.csdata,"",@progbits
; Kernel info:
; codeLenInByte = 16892
; NumSgprs: 64
; NumVgprs: 242
; ScratchSize: 0
; MemoryBound: 1
; FloatMode: 240
; IeeeMode: 1
; LDSByteSize: 0 bytes/workgroup (compile time only)
; SGPRBlocks: 7
; VGPRBlocks: 60
; NumSGPRsForWavesPerEU: 64
; NumVGPRsForWavesPerEU: 242
; Occupancy: 1
; WaveLimiterHint : 1
; COMPUTE_PGM_RSRC2:SCRATCH_EN: 0
; COMPUTE_PGM_RSRC2:USER_SGPR: 6
; COMPUTE_PGM_RSRC2:TRAP_HANDLER: 0
; COMPUTE_PGM_RSRC2:TGID_X_EN: 1
; COMPUTE_PGM_RSRC2:TGID_Y_EN: 0
; COMPUTE_PGM_RSRC2:TGID_Z_EN: 0
; COMPUTE_PGM_RSRC2:TIDIG_COMP_CNT: 0
	.type	__hip_cuid_f33ba9d5e9920375,@object ; @__hip_cuid_f33ba9d5e9920375
	.section	.bss,"aw",@nobits
	.globl	__hip_cuid_f33ba9d5e9920375
__hip_cuid_f33ba9d5e9920375:
	.byte	0                               ; 0x0
	.size	__hip_cuid_f33ba9d5e9920375, 1

	.ident	"AMD clang version 19.0.0git (https://github.com/RadeonOpenCompute/llvm-project roc-6.4.0 25133 c7fe45cf4b819c5991fe208aaa96edf142730f1d)"
	.section	".note.GNU-stack","",@progbits
	.addrsig
	.addrsig_sym __hip_cuid_f33ba9d5e9920375
	.amdgpu_metadata
---
amdhsa.kernels:
  - .args:
      - .actual_access:  read_only
        .address_space:  global
        .offset:         0
        .size:           8
        .value_kind:     global_buffer
      - .offset:         8
        .size:           8
        .value_kind:     by_value
      - .actual_access:  read_only
        .address_space:  global
        .offset:         16
        .size:           8
        .value_kind:     global_buffer
      - .actual_access:  read_only
        .address_space:  global
        .offset:         24
        .size:           8
        .value_kind:     global_buffer
      - .offset:         32
        .size:           8
        .value_kind:     by_value
      - .actual_access:  read_only
        .address_space:  global
        .offset:         40
        .size:           8
        .value_kind:     global_buffer
      - .actual_access:  read_only
        .address_space:  global
        .offset:         48
        .size:           8
        .value_kind:     global_buffer
      - .offset:         56
        .size:           4
        .value_kind:     by_value
      - .actual_access:  read_only
        .address_space:  global
        .offset:         64
        .size:           8
        .value_kind:     global_buffer
      - .actual_access:  read_only
        .address_space:  global
        .offset:         72
        .size:           8
        .value_kind:     global_buffer
      - .address_space:  global
        .offset:         80
        .size:           8
        .value_kind:     global_buffer
    .group_segment_fixed_size: 0
    .kernarg_segment_align: 8
    .kernarg_segment_size: 88
    .language:       OpenCL C
    .language_version:
      - 2
      - 0
    .max_flat_workgroup_size: 102
    .name:           fft_rtc_fwd_len1734_factors_17_17_6_wgs_102_tpt_102_halfLds_dp_ip_CI_unitstride_sbrr_dirReg
    .private_segment_fixed_size: 0
    .sgpr_count:     64
    .sgpr_spill_count: 0
    .symbol:         fft_rtc_fwd_len1734_factors_17_17_6_wgs_102_tpt_102_halfLds_dp_ip_CI_unitstride_sbrr_dirReg.kd
    .uniform_work_group_size: 1
    .uses_dynamic_stack: false
    .vgpr_count:     242
    .vgpr_spill_count: 0
    .wavefront_size: 64
amdhsa.target:   amdgcn-amd-amdhsa--gfx906
amdhsa.version:
  - 1
  - 2
...

	.end_amdgpu_metadata
